;; amdgpu-corpus repo=ROCm/rocFFT kind=compiled arch=gfx1201 opt=O3
	.text
	.amdgcn_target "amdgcn-amd-amdhsa--gfx1201"
	.amdhsa_code_object_version 6
	.protected	fft_rtc_fwd_len748_factors_17_4_11_wgs_204_tpt_68_halfLds_sp_op_CI_CI_unitstride_sbrr_C2R_dirReg ; -- Begin function fft_rtc_fwd_len748_factors_17_4_11_wgs_204_tpt_68_halfLds_sp_op_CI_CI_unitstride_sbrr_C2R_dirReg
	.globl	fft_rtc_fwd_len748_factors_17_4_11_wgs_204_tpt_68_halfLds_sp_op_CI_CI_unitstride_sbrr_C2R_dirReg
	.p2align	8
	.type	fft_rtc_fwd_len748_factors_17_4_11_wgs_204_tpt_68_halfLds_sp_op_CI_CI_unitstride_sbrr_C2R_dirReg,@function
fft_rtc_fwd_len748_factors_17_4_11_wgs_204_tpt_68_halfLds_sp_op_CI_CI_unitstride_sbrr_C2R_dirReg: ; @fft_rtc_fwd_len748_factors_17_4_11_wgs_204_tpt_68_halfLds_sp_op_CI_CI_unitstride_sbrr_C2R_dirReg
; %bb.0:
	s_load_b128 s[8:11], s[0:1], 0x0
	v_mul_u32_u24_e32 v1, 0x3c4, v0
	s_clause 0x1
	s_load_b128 s[4:7], s[0:1], 0x58
	s_load_b128 s[12:15], s[0:1], 0x18
	v_mov_b32_e32 v5, 0
	v_lshrrev_b32_e32 v3, 16, v1
	v_mov_b32_e32 v1, 0
	v_mov_b32_e32 v2, 0
	s_delay_alu instid0(VALU_DEP_3) | instskip(NEXT) | instid1(VALU_DEP_2)
	v_mad_co_u64_u32 v[3:4], null, ttmp9, 3, v[3:4]
	v_dual_mov_b32 v4, v5 :: v_dual_mov_b32 v37, v2
	s_delay_alu instid0(VALU_DEP_1) | instskip(NEXT) | instid1(VALU_DEP_3)
	v_dual_mov_b32 v36, v1 :: v_dual_mov_b32 v41, v4
	v_mov_b32_e32 v40, v3
	s_wait_kmcnt 0x0
	v_cmp_lt_u64_e64 s2, s[10:11], 2
	s_delay_alu instid0(VALU_DEP_1)
	s_and_b32 vcc_lo, exec_lo, s2
	s_cbranch_vccnz .LBB0_8
; %bb.1:
	s_load_b64 s[2:3], s[0:1], 0x10
	v_dual_mov_b32 v1, 0 :: v_dual_mov_b32 v8, v4
	v_dual_mov_b32 v2, 0 :: v_dual_mov_b32 v7, v3
	s_add_nc_u64 s[16:17], s[14:15], 8
	s_add_nc_u64 s[18:19], s[12:13], 8
	s_mov_b64 s[20:21], 1
	s_delay_alu instid0(VALU_DEP_1)
	v_dual_mov_b32 v37, v2 :: v_dual_mov_b32 v36, v1
	s_wait_kmcnt 0x0
	s_add_nc_u64 s[22:23], s[2:3], 8
	s_mov_b32 s3, 0
.LBB0_2:                                ; =>This Inner Loop Header: Depth=1
	s_load_b64 s[24:25], s[22:23], 0x0
                                        ; implicit-def: $vgpr40_vgpr41
	s_mov_b32 s2, exec_lo
	s_wait_kmcnt 0x0
	v_or_b32_e32 v6, s25, v8
	s_delay_alu instid0(VALU_DEP_1)
	v_cmpx_ne_u64_e32 0, v[5:6]
	s_wait_alu 0xfffe
	s_xor_b32 s26, exec_lo, s2
	s_cbranch_execz .LBB0_4
; %bb.3:                                ;   in Loop: Header=BB0_2 Depth=1
	s_cvt_f32_u32 s2, s24
	s_cvt_f32_u32 s27, s25
	s_sub_nc_u64 s[30:31], 0, s[24:25]
	s_wait_alu 0xfffe
	s_delay_alu instid0(SALU_CYCLE_1) | instskip(SKIP_1) | instid1(SALU_CYCLE_2)
	s_fmamk_f32 s2, s27, 0x4f800000, s2
	s_wait_alu 0xfffe
	v_s_rcp_f32 s2, s2
	s_delay_alu instid0(TRANS32_DEP_1) | instskip(SKIP_1) | instid1(SALU_CYCLE_2)
	s_mul_f32 s2, s2, 0x5f7ffffc
	s_wait_alu 0xfffe
	s_mul_f32 s27, s2, 0x2f800000
	s_wait_alu 0xfffe
	s_delay_alu instid0(SALU_CYCLE_2) | instskip(SKIP_1) | instid1(SALU_CYCLE_2)
	s_trunc_f32 s27, s27
	s_wait_alu 0xfffe
	s_fmamk_f32 s2, s27, 0xcf800000, s2
	s_cvt_u32_f32 s29, s27
	s_wait_alu 0xfffe
	s_delay_alu instid0(SALU_CYCLE_1) | instskip(SKIP_1) | instid1(SALU_CYCLE_2)
	s_cvt_u32_f32 s28, s2
	s_wait_alu 0xfffe
	s_mul_u64 s[34:35], s[30:31], s[28:29]
	s_wait_alu 0xfffe
	s_mul_hi_u32 s37, s28, s35
	s_mul_i32 s36, s28, s35
	s_mul_hi_u32 s2, s28, s34
	s_mul_i32 s33, s29, s34
	s_wait_alu 0xfffe
	s_add_nc_u64 s[36:37], s[2:3], s[36:37]
	s_mul_hi_u32 s27, s29, s34
	s_mul_hi_u32 s38, s29, s35
	s_add_co_u32 s2, s36, s33
	s_wait_alu 0xfffe
	s_add_co_ci_u32 s2, s37, s27
	s_mul_i32 s34, s29, s35
	s_add_co_ci_u32 s35, s38, 0
	s_wait_alu 0xfffe
	s_add_nc_u64 s[34:35], s[2:3], s[34:35]
	s_wait_alu 0xfffe
	v_add_co_u32 v4, s2, s28, s34
	s_delay_alu instid0(VALU_DEP_1) | instskip(SKIP_1) | instid1(VALU_DEP_1)
	s_cmp_lg_u32 s2, 0
	s_add_co_ci_u32 s29, s29, s35
	v_readfirstlane_b32 s28, v4
	s_wait_alu 0xfffe
	s_delay_alu instid0(VALU_DEP_1)
	s_mul_u64 s[30:31], s[30:31], s[28:29]
	s_wait_alu 0xfffe
	s_mul_hi_u32 s35, s28, s31
	s_mul_i32 s34, s28, s31
	s_mul_hi_u32 s2, s28, s30
	s_mul_i32 s33, s29, s30
	s_wait_alu 0xfffe
	s_add_nc_u64 s[34:35], s[2:3], s[34:35]
	s_mul_hi_u32 s27, s29, s30
	s_mul_hi_u32 s28, s29, s31
	s_wait_alu 0xfffe
	s_add_co_u32 s2, s34, s33
	s_add_co_ci_u32 s2, s35, s27
	s_mul_i32 s30, s29, s31
	s_add_co_ci_u32 s31, s28, 0
	s_wait_alu 0xfffe
	s_add_nc_u64 s[30:31], s[2:3], s[30:31]
	s_wait_alu 0xfffe
	v_add_co_u32 v4, s2, v4, s30
	s_delay_alu instid0(VALU_DEP_1) | instskip(SKIP_1) | instid1(VALU_DEP_1)
	s_cmp_lg_u32 s2, 0
	s_add_co_ci_u32 s2, s29, s31
	v_mul_hi_u32 v6, v7, v4
	s_wait_alu 0xfffe
	v_mad_co_u64_u32 v[9:10], null, v7, s2, 0
	v_mad_co_u64_u32 v[11:12], null, v8, v4, 0
	;; [unrolled: 1-line block ×3, first 2 shown]
	s_delay_alu instid0(VALU_DEP_3) | instskip(SKIP_1) | instid1(VALU_DEP_4)
	v_add_co_u32 v4, vcc_lo, v6, v9
	s_wait_alu 0xfffd
	v_add_co_ci_u32_e32 v6, vcc_lo, 0, v10, vcc_lo
	s_delay_alu instid0(VALU_DEP_2) | instskip(SKIP_1) | instid1(VALU_DEP_2)
	v_add_co_u32 v4, vcc_lo, v4, v11
	s_wait_alu 0xfffd
	v_add_co_ci_u32_e32 v4, vcc_lo, v6, v12, vcc_lo
	s_wait_alu 0xfffd
	v_add_co_ci_u32_e32 v6, vcc_lo, 0, v14, vcc_lo
	s_delay_alu instid0(VALU_DEP_2) | instskip(SKIP_1) | instid1(VALU_DEP_2)
	v_add_co_u32 v4, vcc_lo, v4, v13
	s_wait_alu 0xfffd
	v_add_co_ci_u32_e32 v6, vcc_lo, 0, v6, vcc_lo
	s_delay_alu instid0(VALU_DEP_2) | instskip(SKIP_1) | instid1(VALU_DEP_3)
	v_mul_lo_u32 v11, s25, v4
	v_mad_co_u64_u32 v[9:10], null, s24, v4, 0
	v_mul_lo_u32 v12, s24, v6
	s_delay_alu instid0(VALU_DEP_2) | instskip(NEXT) | instid1(VALU_DEP_2)
	v_sub_co_u32 v9, vcc_lo, v7, v9
	v_add3_u32 v10, v10, v12, v11
	s_delay_alu instid0(VALU_DEP_1) | instskip(SKIP_1) | instid1(VALU_DEP_1)
	v_sub_nc_u32_e32 v11, v8, v10
	s_wait_alu 0xfffd
	v_subrev_co_ci_u32_e64 v11, s2, s25, v11, vcc_lo
	v_add_co_u32 v12, s2, v4, 2
	s_wait_alu 0xf1ff
	v_add_co_ci_u32_e64 v13, s2, 0, v6, s2
	v_sub_co_u32 v14, s2, v9, s24
	v_sub_co_ci_u32_e32 v10, vcc_lo, v8, v10, vcc_lo
	s_wait_alu 0xf1ff
	v_subrev_co_ci_u32_e64 v11, s2, 0, v11, s2
	s_delay_alu instid0(VALU_DEP_3) | instskip(NEXT) | instid1(VALU_DEP_3)
	v_cmp_le_u32_e32 vcc_lo, s24, v14
	v_cmp_eq_u32_e64 s2, s25, v10
	s_wait_alu 0xfffd
	v_cndmask_b32_e64 v14, 0, -1, vcc_lo
	v_cmp_le_u32_e32 vcc_lo, s25, v11
	s_wait_alu 0xfffd
	v_cndmask_b32_e64 v15, 0, -1, vcc_lo
	v_cmp_le_u32_e32 vcc_lo, s24, v9
	;; [unrolled: 3-line block ×3, first 2 shown]
	s_wait_alu 0xfffd
	v_cndmask_b32_e64 v16, 0, -1, vcc_lo
	v_cmp_eq_u32_e32 vcc_lo, s25, v11
	s_wait_alu 0xf1ff
	s_delay_alu instid0(VALU_DEP_2)
	v_cndmask_b32_e64 v9, v16, v9, s2
	s_wait_alu 0xfffd
	v_cndmask_b32_e32 v11, v15, v14, vcc_lo
	v_add_co_u32 v14, vcc_lo, v4, 1
	s_wait_alu 0xfffd
	v_add_co_ci_u32_e32 v15, vcc_lo, 0, v6, vcc_lo
	s_delay_alu instid0(VALU_DEP_3) | instskip(SKIP_1) | instid1(VALU_DEP_2)
	v_cmp_ne_u32_e32 vcc_lo, 0, v11
	s_wait_alu 0xfffd
	v_dual_cndmask_b32 v10, v15, v13 :: v_dual_cndmask_b32 v11, v14, v12
	v_cmp_ne_u32_e32 vcc_lo, 0, v9
	s_wait_alu 0xfffd
	s_delay_alu instid0(VALU_DEP_2)
	v_dual_cndmask_b32 v41, v6, v10 :: v_dual_cndmask_b32 v40, v4, v11
.LBB0_4:                                ;   in Loop: Header=BB0_2 Depth=1
	s_wait_alu 0xfffe
	s_and_not1_saveexec_b32 s2, s26
	s_cbranch_execz .LBB0_6
; %bb.5:                                ;   in Loop: Header=BB0_2 Depth=1
	v_cvt_f32_u32_e32 v4, s24
	s_sub_co_i32 s26, 0, s24
	v_mov_b32_e32 v41, v5
	s_delay_alu instid0(VALU_DEP_2) | instskip(NEXT) | instid1(TRANS32_DEP_1)
	v_rcp_iflag_f32_e32 v4, v4
	v_mul_f32_e32 v4, 0x4f7ffffe, v4
	s_delay_alu instid0(VALU_DEP_1) | instskip(SKIP_1) | instid1(VALU_DEP_1)
	v_cvt_u32_f32_e32 v4, v4
	s_wait_alu 0xfffe
	v_mul_lo_u32 v6, s26, v4
	s_delay_alu instid0(VALU_DEP_1) | instskip(NEXT) | instid1(VALU_DEP_1)
	v_mul_hi_u32 v6, v4, v6
	v_add_nc_u32_e32 v4, v4, v6
	s_delay_alu instid0(VALU_DEP_1) | instskip(NEXT) | instid1(VALU_DEP_1)
	v_mul_hi_u32 v4, v7, v4
	v_mul_lo_u32 v6, v4, s24
	s_delay_alu instid0(VALU_DEP_1) | instskip(NEXT) | instid1(VALU_DEP_1)
	v_sub_nc_u32_e32 v6, v7, v6
	v_subrev_nc_u32_e32 v10, s24, v6
	v_cmp_le_u32_e32 vcc_lo, s24, v6
	s_wait_alu 0xfffd
	s_delay_alu instid0(VALU_DEP_2) | instskip(NEXT) | instid1(VALU_DEP_1)
	v_dual_cndmask_b32 v6, v6, v10 :: v_dual_add_nc_u32 v9, 1, v4
	v_cndmask_b32_e32 v4, v4, v9, vcc_lo
	s_delay_alu instid0(VALU_DEP_2) | instskip(NEXT) | instid1(VALU_DEP_2)
	v_cmp_le_u32_e32 vcc_lo, s24, v6
	v_add_nc_u32_e32 v9, 1, v4
	s_wait_alu 0xfffd
	s_delay_alu instid0(VALU_DEP_1)
	v_cndmask_b32_e32 v40, v4, v9, vcc_lo
.LBB0_6:                                ;   in Loop: Header=BB0_2 Depth=1
	s_wait_alu 0xfffe
	s_or_b32 exec_lo, exec_lo, s2
	v_mul_lo_u32 v4, v41, s24
	s_delay_alu instid0(VALU_DEP_2)
	v_mul_lo_u32 v6, v40, s25
	s_load_b64 s[26:27], s[18:19], 0x0
	v_mad_co_u64_u32 v[9:10], null, v40, s24, 0
	s_load_b64 s[24:25], s[16:17], 0x0
	s_add_nc_u64 s[20:21], s[20:21], 1
	s_add_nc_u64 s[16:17], s[16:17], 8
	s_wait_alu 0xfffe
	v_cmp_ge_u64_e64 s2, s[20:21], s[10:11]
	s_add_nc_u64 s[18:19], s[18:19], 8
	s_add_nc_u64 s[22:23], s[22:23], 8
	v_add3_u32 v4, v10, v6, v4
	v_sub_co_u32 v6, vcc_lo, v7, v9
	s_wait_alu 0xfffd
	s_delay_alu instid0(VALU_DEP_2) | instskip(SKIP_2) | instid1(VALU_DEP_1)
	v_sub_co_ci_u32_e32 v4, vcc_lo, v8, v4, vcc_lo
	s_and_b32 vcc_lo, exec_lo, s2
	s_wait_kmcnt 0x0
	v_mul_lo_u32 v7, s26, v4
	v_mul_lo_u32 v8, s27, v6
	v_mad_co_u64_u32 v[1:2], null, s26, v6, v[1:2]
	v_mul_lo_u32 v4, s24, v4
	v_mul_lo_u32 v9, s25, v6
	v_mad_co_u64_u32 v[36:37], null, s24, v6, v[36:37]
	s_delay_alu instid0(VALU_DEP_4) | instskip(NEXT) | instid1(VALU_DEP_2)
	v_add3_u32 v2, v8, v2, v7
	v_add3_u32 v37, v9, v37, v4
	s_wait_alu 0xfffe
	s_cbranch_vccnz .LBB0_8
; %bb.7:                                ;   in Loop: Header=BB0_2 Depth=1
	v_dual_mov_b32 v7, v40 :: v_dual_mov_b32 v8, v41
	s_branch .LBB0_2
.LBB0_8:
	s_load_b64 s[0:1], s[0:1], 0x28
	v_mul_hi_u32 v4, 0xaaaaaaab, v3
	s_lshl_b64 s[10:11], s[10:11], 3
                                        ; implicit-def: $vgpr38
	s_wait_alu 0xfffe
	s_add_nc_u64 s[2:3], s[14:15], s[10:11]
	s_delay_alu instid0(VALU_DEP_1) | instskip(NEXT) | instid1(VALU_DEP_1)
	v_lshrrev_b32_e32 v4, 1, v4
	v_lshl_add_u32 v5, v4, 1, v4
	v_mul_hi_u32 v4, 0x3c3c3c4, v0
	s_delay_alu instid0(VALU_DEP_2) | instskip(SKIP_3) | instid1(VALU_DEP_1)
	v_sub_nc_u32_e32 v3, v3, v5
	s_wait_kmcnt 0x0
	v_cmp_gt_u64_e32 vcc_lo, s[0:1], v[40:41]
	v_cmp_le_u64_e64 s0, s[0:1], v[40:41]
	s_and_saveexec_b32 s1, s0
	s_wait_alu 0xfffe
	s_xor_b32 s0, exec_lo, s1
; %bb.9:
	v_mul_u32_u24_e32 v1, 0x44, v4
                                        ; implicit-def: $vgpr4
	s_delay_alu instid0(VALU_DEP_1)
	v_sub_nc_u32_e32 v38, v0, v1
                                        ; implicit-def: $vgpr0
                                        ; implicit-def: $vgpr1_vgpr2
; %bb.10:
	s_wait_alu 0xfffe
	s_or_saveexec_b32 s1, s0
	s_load_b64 s[2:3], s[2:3], 0x0
	v_mul_u32_u24_e32 v3, 0x2ed, v3
	s_delay_alu instid0(VALU_DEP_1)
	v_lshlrev_b32_e32 v58, 3, v3
	s_xor_b32 exec_lo, exec_lo, s1
	s_cbranch_execz .LBB0_14
; %bb.11:
	s_add_nc_u64 s[10:11], s[12:13], s[10:11]
	v_lshlrev_b64_e32 v[1:2], 3, v[1:2]
	s_load_b64 s[10:11], s[10:11], 0x0
	s_wait_kmcnt 0x0
	v_mul_lo_u32 v7, s11, v40
	v_mul_lo_u32 v8, s10, v41
	v_mad_co_u64_u32 v[5:6], null, s10, v40, 0
	s_delay_alu instid0(VALU_DEP_1) | instskip(SKIP_1) | instid1(VALU_DEP_2)
	v_add3_u32 v6, v6, v8, v7
	v_mul_u32_u24_e32 v7, 0x44, v4
	v_lshlrev_b64_e32 v[4:5], 3, v[5:6]
	s_delay_alu instid0(VALU_DEP_2) | instskip(NEXT) | instid1(VALU_DEP_1)
	v_sub_nc_u32_e32 v38, v0, v7
	v_lshlrev_b32_e32 v26, 3, v38
	s_delay_alu instid0(VALU_DEP_3) | instskip(SKIP_1) | instid1(VALU_DEP_4)
	v_add_co_u32 v0, s0, s4, v4
	s_wait_alu 0xf1ff
	v_add_co_ci_u32_e64 v4, s0, s5, v5, s0
	s_mov_b32 s4, exec_lo
	s_delay_alu instid0(VALU_DEP_2) | instskip(SKIP_1) | instid1(VALU_DEP_2)
	v_add_co_u32 v0, s0, v0, v1
	s_wait_alu 0xf1ff
	v_add_co_ci_u32_e64 v1, s0, v4, v2, s0
	v_add3_u32 v2, 0, v58, v26
	s_delay_alu instid0(VALU_DEP_3) | instskip(SKIP_1) | instid1(VALU_DEP_3)
	v_add_co_u32 v4, s0, v0, v26
	s_wait_alu 0xf1ff
	v_add_co_ci_u32_e64 v5, s0, 0, v1, s0
	s_clause 0xa
	global_load_b64 v[6:7], v[4:5], off
	global_load_b64 v[8:9], v[4:5], off offset:544
	global_load_b64 v[10:11], v[4:5], off offset:1088
	;; [unrolled: 1-line block ×10, first 2 shown]
	v_add_nc_u32_e32 v26, 0x800, v2
	v_add_nc_u32_e32 v27, 0x1000, v2
	s_wait_loadcnt 0x9
	ds_store_2addr_b64 v2, v[6:7], v[8:9] offset1:68
	s_wait_loadcnt 0x7
	ds_store_2addr_b64 v2, v[10:11], v[12:13] offset0:136 offset1:204
	s_wait_loadcnt 0x5
	ds_store_2addr_b64 v26, v[14:15], v[16:17] offset0:16 offset1:84
	;; [unrolled: 2-line block ×4, first 2 shown]
	s_wait_loadcnt 0x0
	ds_store_b64 v2, v[4:5] offset:5440
	v_cmpx_eq_u32_e32 0x43, v38
	s_cbranch_execz .LBB0_13
; %bb.12:
	global_load_b64 v[0:1], v[0:1], off offset:5984
	v_mov_b32_e32 v38, 0x43
	s_wait_loadcnt 0x0
	ds_store_b64 v2, v[0:1] offset:5448
.LBB0_13:
	s_wait_alu 0xfffe
	s_or_b32 exec_lo, exec_lo, s4
.LBB0_14:
	s_delay_alu instid0(SALU_CYCLE_1)
	s_or_b32 exec_lo, exec_lo, s1
	v_lshl_add_u32 v56, v3, 3, 0
	v_lshlrev_b32_e32 v4, 3, v38
	global_wb scope:SCOPE_SE
	s_wait_dscnt 0x0
	s_wait_kmcnt 0x0
	s_barrier_signal -1
	s_barrier_wait -1
	global_inv scope:SCOPE_SE
	v_add_nc_u32_e32 v57, v56, v4
	v_sub_nc_u32_e32 v5, v56, v4
	s_mov_b32 s1, exec_lo
                                        ; implicit-def: $vgpr0_vgpr1
	ds_load_b32 v6, v57
	ds_load_b32 v7, v5 offset:5984
	s_wait_dscnt 0x0
	v_dual_add_f32 v2, v7, v6 :: v_dual_sub_f32 v3, v6, v7
	v_cmpx_ne_u32_e32 0, v38
	s_wait_alu 0xfffe
	s_xor_b32 s1, exec_lo, s1
	s_cbranch_execz .LBB0_16
; %bb.15:
	v_dual_mov_b32 v39, 0 :: v_dual_add_f32 v8, v7, v6
	s_delay_alu instid0(VALU_DEP_1) | instskip(NEXT) | instid1(VALU_DEP_1)
	v_lshlrev_b64_e32 v[0:1], 3, v[38:39]
	v_add_co_u32 v0, s0, s8, v0
	s_wait_alu 0xf1ff
	s_delay_alu instid0(VALU_DEP_2)
	v_add_co_ci_u32_e64 v1, s0, s9, v1, s0
	global_load_b64 v[0:1], v[0:1], off offset:5848
	ds_load_b32 v2, v5 offset:5988
	ds_load_b32 v3, v57 offset:4
	v_sub_f32_e32 v9, v6, v7
	s_wait_dscnt 0x0
	v_add_f32_e32 v10, v2, v3
	v_sub_f32_e32 v2, v3, v2
	s_wait_loadcnt 0x0
	s_delay_alu instid0(VALU_DEP_1) | instskip(SKIP_2) | instid1(VALU_DEP_3)
	v_fma_f32 v3, v10, v1, v2
	v_fma_f32 v6, -v9, v1, v8
	v_fma_f32 v11, v9, v1, v8
	v_fmac_f32_e32 v3, v9, v0
	v_fma_f32 v7, v10, v1, -v2
	s_delay_alu instid0(VALU_DEP_4) | instskip(NEXT) | instid1(VALU_DEP_4)
	v_fmac_f32_e32 v6, v0, v10
	v_fma_f32 v2, -v0, v10, v11
	s_delay_alu instid0(VALU_DEP_3)
	v_dual_fmac_f32 v7, v9, v0 :: v_dual_mov_b32 v0, v38
	v_mov_b32_e32 v1, v39
	ds_store_b64 v5, v[6:7] offset:5984
.LBB0_16:
	s_wait_alu 0xfffe
	s_and_not1_saveexec_b32 s0, s1
	s_cbranch_execz .LBB0_18
; %bb.17:
	ds_load_b64 v[0:1], v56 offset:2992
	s_wait_dscnt 0x0
	v_dual_add_f32 v6, v0, v0 :: v_dual_mul_f32 v7, -2.0, v1
	v_mov_b32_e32 v0, 0
	v_mov_b32_e32 v1, 0
	ds_store_b64 v56, v[6:7] offset:2992
.LBB0_18:
	s_wait_alu 0xfffe
	s_or_b32 exec_lo, exec_lo, s0
	v_lshlrev_b64_e32 v[0:1], 3, v[0:1]
	s_add_nc_u64 s[0:1], s[8:9], 0x16d8
	s_wait_alu 0xfffe
	s_delay_alu instid0(VALU_DEP_1) | instskip(SKIP_1) | instid1(VALU_DEP_2)
	v_add_co_u32 v0, s0, s0, v0
	s_wait_alu 0xf1ff
	v_add_co_ci_u32_e64 v1, s0, s1, v1, s0
	s_mov_b32 s1, exec_lo
	s_clause 0x3
	global_load_b64 v[6:7], v[0:1], off offset:544
	global_load_b64 v[8:9], v[0:1], off offset:1088
	;; [unrolled: 1-line block ×4, first 2 shown]
	ds_store_b64 v57, v[2:3]
	ds_load_b64 v[2:3], v57 offset:544
	ds_load_b64 v[14:15], v5 offset:5440
	s_wait_dscnt 0x0
	v_dual_add_f32 v16, v2, v14 :: v_dual_add_f32 v17, v15, v3
	v_sub_f32_e32 v18, v2, v14
	v_sub_f32_e32 v2, v3, v15
	s_wait_loadcnt 0x3
	s_delay_alu instid0(VALU_DEP_1) | instskip(NEXT) | instid1(VALU_DEP_3)
	v_fma_f32 v3, v17, v7, v2
	v_fma_f32 v19, v18, v7, v16
	v_fma_f32 v14, -v18, v7, v16
	s_delay_alu instid0(VALU_DEP_3) | instskip(SKIP_1) | instid1(VALU_DEP_4)
	v_fmac_f32_e32 v3, v18, v6
	v_fma_f32 v15, v17, v7, -v2
	v_fma_f32 v2, -v6, v17, v19
	s_delay_alu instid0(VALU_DEP_4) | instskip(NEXT) | instid1(VALU_DEP_3)
	v_fmac_f32_e32 v14, v6, v17
	v_fmac_f32_e32 v15, v18, v6
	ds_store_b64 v57, v[2:3] offset:544
	ds_store_b64 v5, v[14:15] offset:5440
	ds_load_b64 v[2:3], v57 offset:1088
	ds_load_b64 v[6:7], v5 offset:4896
	s_wait_dscnt 0x0
	v_dual_add_f32 v15, v7, v3 :: v_dual_sub_f32 v16, v2, v6
	v_add_f32_e32 v14, v2, v6
	v_sub_f32_e32 v2, v3, v7
	s_wait_loadcnt 0x2
	s_delay_alu instid0(VALU_DEP_1) | instskip(SKIP_1) | instid1(VALU_DEP_2)
	v_fma_f32 v7, v15, v9, -v2
	v_fma_f32 v3, v15, v9, v2
	v_fmac_f32_e32 v7, v16, v8
	v_fma_f32 v17, v16, v9, v14
	v_fma_f32 v6, -v16, v9, v14
	s_delay_alu instid0(VALU_DEP_4) | instskip(NEXT) | instid1(VALU_DEP_3)
	v_fmac_f32_e32 v3, v16, v8
	v_fma_f32 v2, -v8, v15, v17
	s_delay_alu instid0(VALU_DEP_3)
	v_fmac_f32_e32 v6, v8, v15
	ds_store_b64 v57, v[2:3] offset:1088
	ds_store_b64 v5, v[6:7] offset:4896
	ds_load_b64 v[2:3], v57 offset:1632
	ds_load_b64 v[6:7], v5 offset:4352
	s_wait_dscnt 0x0
	v_dual_add_f32 v8, v2, v6 :: v_dual_add_f32 v9, v7, v3
	v_sub_f32_e32 v14, v2, v6
	v_sub_f32_e32 v2, v3, v7
	s_wait_loadcnt 0x1
	s_delay_alu instid0(VALU_DEP_2) | instskip(NEXT) | instid1(VALU_DEP_2)
	v_fma_f32 v15, v14, v11, v8
	v_fma_f32 v7, v9, v11, -v2
	v_fma_f32 v6, -v14, v11, v8
	s_delay_alu instid0(VALU_DEP_2) | instskip(SKIP_2) | instid1(VALU_DEP_4)
	v_fmac_f32_e32 v7, v14, v10
	v_fma_f32 v3, v9, v11, v2
	v_fma_f32 v2, -v10, v9, v15
	v_fmac_f32_e32 v6, v10, v9
	s_delay_alu instid0(VALU_DEP_3)
	v_fmac_f32_e32 v3, v14, v10
	ds_store_b64 v57, v[2:3] offset:1632
	ds_store_b64 v5, v[6:7] offset:4352
	ds_load_b64 v[2:3], v57 offset:2176
	ds_load_b64 v[6:7], v5 offset:3808
	s_wait_dscnt 0x0
	v_dual_add_f32 v8, v2, v6 :: v_dual_add_f32 v9, v7, v3
	v_sub_f32_e32 v10, v2, v6
	v_sub_f32_e32 v2, v3, v7
	s_wait_loadcnt 0x0
	s_delay_alu instid0(VALU_DEP_2) | instskip(NEXT) | instid1(VALU_DEP_2)
	v_fma_f32 v11, v10, v13, v8
	v_fma_f32 v3, v9, v13, v2
	v_fma_f32 v6, -v10, v13, v8
	s_delay_alu instid0(VALU_DEP_2) | instskip(SKIP_2) | instid1(VALU_DEP_2)
	v_fmac_f32_e32 v3, v10, v12
	v_fma_f32 v7, v9, v13, -v2
	v_fma_f32 v2, -v12, v9, v11
	v_dual_fmac_f32 v6, v12, v9 :: v_dual_fmac_f32 v7, v10, v12
	ds_store_b64 v57, v[2:3] offset:2176
	ds_store_b64 v5, v[6:7] offset:3808
	v_cmpx_gt_u32_e32 34, v38
	s_cbranch_execz .LBB0_20
; %bb.19:
	global_load_b64 v[0:1], v[0:1], off offset:2720
	ds_load_b64 v[2:3], v57 offset:2720
	ds_load_b64 v[6:7], v5 offset:3264
	s_wait_dscnt 0x0
	v_dual_add_f32 v8, v2, v6 :: v_dual_add_f32 v9, v7, v3
	v_dual_sub_f32 v10, v2, v6 :: v_dual_sub_f32 v3, v3, v7
	s_wait_loadcnt 0x0
	s_delay_alu instid0(VALU_DEP_1) | instskip(NEXT) | instid1(VALU_DEP_2)
	v_fma_f32 v11, v10, v1, v8
	v_fma_f32 v2, v9, v1, v3
	v_fma_f32 v6, -v10, v1, v8
	v_fma_f32 v7, v9, v1, -v3
	s_delay_alu instid0(VALU_DEP_4) | instskip(NEXT) | instid1(VALU_DEP_4)
	v_fma_f32 v1, -v0, v9, v11
	v_fmac_f32_e32 v2, v10, v0
	s_delay_alu instid0(VALU_DEP_3)
	v_dual_fmac_f32 v6, v0, v9 :: v_dual_fmac_f32 v7, v10, v0
	ds_store_b64 v57, v[1:2] offset:2720
	ds_store_b64 v5, v[6:7] offset:3264
.LBB0_20:
	s_wait_alu 0xfffe
	s_or_b32 exec_lo, exec_lo, s1
	v_add3_u32 v39, 0, v4, v58
	global_wb scope:SCOPE_SE
	s_wait_dscnt 0x0
	s_barrier_signal -1
	s_barrier_wait -1
	global_inv scope:SCOPE_SE
	v_add_nc_u32_e32 v0, 0x1000, v39
	global_wb scope:SCOPE_SE
	s_barrier_signal -1
	s_barrier_wait -1
	global_inv scope:SCOPE_SE
	ds_load_2addr_b64 v[32:35], v39 offset0:44 offset1:88
	ds_load_2addr_b64 v[4:7], v0 offset0:148 offset1:192
	;; [unrolled: 1-line block ×4, first 2 shown]
	v_add_nc_u32_e32 v60, 0x400, v39
	v_add_nc_u32_e32 v0, 0x800, v39
	;; [unrolled: 1-line block ×3, first 2 shown]
	s_mov_b32 s1, exec_lo
	s_wait_dscnt 0x2
	v_dual_add_f32 v62, v7, v33 :: v_dual_sub_f32 v79, v32, v6
	v_add_f32_e32 v63, v4, v34
	ds_load_b64 v[46:47], v57
	ds_load_2addr_b64 v[24:27], v60 offset0:92 offset1:136
	ds_load_2addr_b64 v[20:23], v0 offset0:52 offset1:96
	;; [unrolled: 1-line block ×4, first 2 shown]
	v_dual_sub_f32 v77, v33, v7 :: v_dual_sub_f32 v78, v35, v5
	v_dual_add_f32 v61, v6, v32 :: v_dual_add_f32 v64, v5, v35
	s_wait_dscnt 0x5
	v_dual_sub_f32 v81, v34, v4 :: v_dual_sub_f32 v82, v28, v10
	s_delay_alu instid0(VALU_DEP_3) | instskip(SKIP_2) | instid1(VALU_DEP_4)
	v_dual_mul_f32 v51, 0xbf4c4adb, v77 :: v_dual_sub_f32 v84, v30, v8
	v_mul_f32_e32 v55, 0xbf4c4adb, v79
	v_dual_sub_f32 v80, v29, v11 :: v_dual_add_f32 v67, v8, v30
	v_dual_mul_f32 v49, 0x3f763a35, v78 :: v_dual_mul_f32 v54, 0x3f763a35, v81
	s_delay_alu instid0(VALU_DEP_3)
	v_fma_f32 v1, 0xbf1a4643, v62, -v55
	v_dual_fmamk_f32 v0, v61, 0xbf1a4643, v51 :: v_dual_add_f32 v65, v10, v28
	v_add_f32_e32 v66, v11, v29
	v_dual_mul_f32 v50, 0xbeb8f4ab, v80 :: v_dual_mul_f32 v53, 0xbeb8f4ab, v82
	s_wait_dscnt 0x0
	v_dual_fmamk_f32 v2, v63, 0xbe8c1d8e, v49 :: v_dual_sub_f32 v85, v25, v15
	v_fma_f32 v3, 0xbe8c1d8e, v64, -v54
	v_dual_add_f32 v1, v47, v1 :: v_dual_add_f32 v0, v46, v0
	v_dual_sub_f32 v83, v31, v9 :: v_dual_fmamk_f32 v42, v65, 0x3f6eb680, v50
	v_mul_f32_e32 v93, 0xbf06c442, v84
	s_delay_alu instid0(VALU_DEP_3) | instskip(NEXT) | instid1(VALU_DEP_4)
	v_dual_add_f32 v1, v3, v1 :: v_dual_sub_f32 v86, v24, v14
	v_dual_sub_f32 v87, v27, v13 :: v_dual_add_f32 v0, v2, v0
	v_fma_f32 v2, 0x3f6eb680, v66, -v53
	v_mul_f32_e32 v48, 0xbf06c442, v83
	v_add_f32_e32 v68, v9, v31
	v_dual_add_f32 v70, v15, v25 :: v_dual_sub_f32 v89, v26, v12
	s_delay_alu instid0(VALU_DEP_4) | instskip(SKIP_1) | instid1(VALU_DEP_4)
	v_add_f32_e32 v1, v2, v1
	v_mul_f32_e32 v95, 0x3f7ee86f, v86
	v_fma_f32 v3, 0xbf59a7d5, v68, -v93
	v_add_f32_e32 v0, v42, v0
	v_dual_fmamk_f32 v2, v67, 0xbf59a7d5, v48 :: v_dual_add_f32 v69, v14, v24
	v_dual_mul_f32 v52, 0x3f7ee86f, v85 :: v_dual_add_f32 v71, v12, v26
	s_delay_alu instid0(VALU_DEP_4) | instskip(SKIP_1) | instid1(VALU_DEP_4)
	v_add_f32_e32 v1, v3, v1
	v_fma_f32 v3, 0x3dbcf732, v70, -v95
	v_add_f32_e32 v0, v2, v0
	s_delay_alu instid0(VALU_DEP_4) | instskip(SKIP_1) | instid1(VALU_DEP_4)
	v_dual_fmamk_f32 v2, v69, 0x3dbcf732, v52 :: v_dual_sub_f32 v91, v20, v18
	v_dual_mul_f32 v98, 0xbf2c7751, v89 :: v_dual_add_f32 v75, v16, v22
	v_dual_add_f32 v1, v3, v1 :: v_dual_sub_f32 v88, v21, v19
	v_add_f32_e32 v72, v13, v27
	s_delay_alu instid0(VALU_DEP_4) | instskip(SKIP_1) | instid1(VALU_DEP_4)
	v_dual_add_f32 v0, v2, v0 :: v_dual_mul_f32 v99, 0xbe3c28d5, v91
	v_dual_add_f32 v74, v19, v21 :: v_dual_mul_f32 v115, 0xbf06c442, v79
	v_mul_f32_e32 v97, 0xbe3c28d5, v88
	s_delay_alu instid0(VALU_DEP_4) | instskip(SKIP_3) | instid1(VALU_DEP_4)
	v_fma_f32 v3, 0x3f3d2fb0, v72, -v98
	v_mul_f32_e32 v108, 0xbeb8f4ab, v86
	v_dual_mul_f32 v94, 0xbf2c7751, v87 :: v_dual_add_f32 v73, v18, v20
	v_mul_f32_e32 v103, 0xbf06c442, v77
	v_add_f32_e32 v1, v3, v1
	v_fma_f32 v3, 0xbf7ba420, v74, -v99
	v_sub_f32_e32 v92, v22, v16
	v_fma_f32 v45, 0x3f6eb680, v70, -v108
	v_mul_f32_e32 v114, 0x3f65296c, v81
	s_delay_alu instid0(VALU_DEP_4) | instskip(SKIP_2) | instid1(VALU_DEP_4)
	v_dual_mul_f32 v106, 0xbf7ee86f, v80 :: v_dual_add_f32 v1, v3, v1
	v_fma_f32 v3, 0xbf59a7d5, v62, -v115
	v_mul_f32_e32 v104, 0x3f65296c, v78
	v_fma_f32 v44, 0x3ee437d1, v64, -v114
	v_sub_f32_e32 v90, v23, v17
	s_delay_alu instid0(VALU_DEP_4) | instskip(SKIP_4) | instid1(VALU_DEP_4)
	v_dual_mul_f32 v110, 0xbf7ee86f, v82 :: v_dual_add_f32 v3, v47, v3
	v_fmamk_f32 v2, v71, 0x3f3d2fb0, v94
	v_fmamk_f32 v43, v63, 0x3ee437d1, v104
	v_mul_f32_e32 v101, 0x3f4c4adb, v83
	v_dual_add_f32 v76, v17, v23 :: v_dual_mul_f32 v111, 0x3f4c4adb, v84
	v_dual_add_f32 v3, v44, v3 :: v_dual_add_f32 v0, v2, v0
	v_fmamk_f32 v2, v73, 0xbf7ba420, v97
	v_fma_f32 v44, 0x3dbcf732, v66, -v110
	v_mul_f32_e32 v100, 0x3f65296c, v92
	v_mul_f32_e32 v105, 0xbeb8f4ab, v85
	s_delay_alu instid0(VALU_DEP_4) | instskip(SKIP_4) | instid1(VALU_DEP_4)
	v_dual_mul_f32 v109, 0xbe3c28d5, v89 :: v_dual_add_f32 v0, v2, v0
	v_fmamk_f32 v2, v61, 0xbf59a7d5, v103
	v_mul_f32_e32 v107, 0xbe3c28d5, v87
	v_dual_mul_f32 v112, 0x3f2c7751, v91 :: v_dual_mul_f32 v125, 0x3f2c7751, v84
	v_mul_f32_e32 v102, 0x3f2c7751, v88
	v_add_f32_e32 v2, v46, v2
	v_mul_f32_e32 v117, 0x3eb8f4ab, v78
	v_mul_f32_e32 v120, 0xbf06c442, v80
	;; [unrolled: 1-line block ×3, first 2 shown]
	v_dual_mul_f32 v126, 0xbf4c4adb, v85 :: v_dual_mul_f32 v127, 0xbf4c4adb, v86
	v_dual_add_f32 v2, v43, v2 :: v_dual_fmamk_f32 v43, v65, 0x3dbcf732, v106
	v_mul_f32_e32 v96, 0x3f65296c, v90
	v_mul_f32_e32 v119, 0x3eb8f4ab, v81
	v_fma_f32 v116, 0xbf59a7d5, v65, -v120
	v_fmac_f32_e32 v120, 0xbf59a7d5, v65
	v_mul_f32_e32 v113, 0xbf763a35, v90
	v_fmamk_f32 v42, v75, 0x3ee437d1, v96
	v_mul_f32_e32 v121, 0xbf06c442, v82
	v_fma_f32 v124, 0x3f3d2fb0, v67, -v122
	v_fmac_f32_e32 v122, 0x3f3d2fb0, v67
	v_fma_f32 v128, 0xbf1a4643, v69, -v126
	v_add_f32_e32 v42, v42, v0
	v_add_f32_e32 v0, v43, v2
	v_dual_add_f32 v2, v44, v3 :: v_dual_fmamk_f32 v3, v67, 0xbf1a4643, v101
	v_fma_f32 v43, 0xbf1a4643, v68, -v111
	v_fma_f32 v44, 0x3ee437d1, v76, -v100
	v_fmac_f32_e32 v126, 0xbf1a4643, v69
	global_wb scope:SCOPE_SE
	v_add_f32_e32 v0, v3, v0
	v_dual_add_f32 v2, v43, v2 :: v_dual_fmamk_f32 v3, v69, 0x3f6eb680, v105
	v_add_f32_e32 v43, v44, v1
	s_barrier_signal -1
	s_barrier_wait -1
	s_delay_alu instid0(VALU_DEP_2)
	v_add_f32_e32 v1, v45, v2
	v_dual_mul_f32 v45, 0xbe3c28d5, v77 :: v_dual_add_f32 v0, v3, v0
	v_fma_f32 v3, 0xbf7ba420, v72, -v109
	global_inv scope:SCOPE_SE
	v_fma_f32 v44, 0xbf7ba420, v61, -v45
	v_fmac_f32_e32 v45, 0xbf7ba420, v61
	v_fmamk_f32 v2, v71, 0xbf7ba420, v107
	v_add_f32_e32 v1, v3, v1
	v_fma_f32 v3, 0x3f3d2fb0, v74, -v112
	s_delay_alu instid0(VALU_DEP_4) | instskip(NEXT) | instid1(VALU_DEP_4)
	v_add_f32_e32 v45, v46, v45
	v_add_f32_e32 v0, v2, v0
	s_delay_alu instid0(VALU_DEP_3) | instskip(SKIP_3) | instid1(VALU_DEP_4)
	v_dual_fmamk_f32 v2, v73, 0x3f3d2fb0, v102 :: v_dual_add_f32 v1, v3, v1
	v_fma_f32 v3, 0x3f6eb680, v63, -v117
	v_fmac_f32_e32 v117, 0x3f6eb680, v63
	v_mul_f32_e32 v118, 0xbe3c28d5, v79
	v_add_f32_e32 v0, v2, v0
	s_delay_alu instid0(VALU_DEP_3) | instskip(NEXT) | instid1(VALU_DEP_3)
	v_dual_add_f32 v2, v46, v44 :: v_dual_add_f32 v45, v117, v45
	v_fmamk_f32 v44, v62, 0xbf7ba420, v118
	v_fma_f32 v118, 0xbf7ba420, v62, -v118
	s_delay_alu instid0(VALU_DEP_3)
	v_add_f32_e32 v2, v3, v2
	v_fmamk_f32 v123, v75, 0xbe8c1d8e, v113
	v_add_f32_e32 v45, v120, v45
	v_dual_add_f32 v3, v47, v44 :: v_dual_fmamk_f32 v44, v64, 0x3f6eb680, v119
	v_add_f32_e32 v118, v47, v118
	v_fma_f32 v119, 0x3f6eb680, v64, -v119
	s_delay_alu instid0(VALU_DEP_4) | instskip(NEXT) | instid1(VALU_DEP_4)
	v_dual_add_f32 v45, v122, v45 :: v_dual_mul_f32 v122, 0x3f7ee86f, v92
	v_dual_add_f32 v3, v44, v3 :: v_dual_fmamk_f32 v44, v66, 0xbf59a7d5, v121
	s_delay_alu instid0(VALU_DEP_3)
	v_add_f32_e32 v117, v119, v118
	v_fma_f32 v118, 0xbf59a7d5, v66, -v121
	v_mul_f32_e32 v119, 0xbf763a35, v88
	v_mul_f32_e32 v121, 0xbf763a35, v91
	v_dual_add_f32 v3, v44, v3 :: v_dual_add_f32 v44, v123, v0
	v_dual_fmamk_f32 v123, v70, 0xbf1a4643, v127 :: v_dual_add_f32 v2, v116, v2
	v_add_f32_e32 v117, v118, v117
	v_fma_f32 v118, 0x3f3d2fb0, v68, -v125
	v_dual_mul_f32 v116, 0xbf763a35, v92 :: v_dual_add_f32 v45, v126, v45
	s_delay_alu instid0(VALU_DEP_4) | instskip(NEXT) | instid1(VALU_DEP_3)
	v_add_f32_e32 v2, v124, v2
	v_dual_fmamk_f32 v124, v68, 0x3f3d2fb0, v125 :: v_dual_add_f32 v117, v118, v117
	v_fma_f32 v118, 0xbf1a4643, v70, -v127
	v_fma_f32 v120, 0xbe8c1d8e, v73, -v119
	s_delay_alu instid0(VALU_DEP_4) | instskip(NEXT) | instid1(VALU_DEP_4)
	v_add_f32_e32 v2, v128, v2
	v_add_f32_e32 v3, v124, v3
	s_delay_alu instid0(VALU_DEP_4) | instskip(SKIP_2) | instid1(VALU_DEP_4)
	v_dual_mul_f32 v124, 0x3f65296c, v87 :: v_dual_add_f32 v117, v118, v117
	v_mul_f32_e32 v128, 0x3f65296c, v89
	v_fma_f32 v0, 0xbe8c1d8e, v76, -v116
	v_add_f32_e32 v3, v123, v3
	s_delay_alu instid0(VALU_DEP_4) | instskip(SKIP_2) | instid1(VALU_DEP_3)
	v_fma_f32 v123, 0x3ee437d1, v71, -v124
	v_fmac_f32_e32 v124, 0x3ee437d1, v71
	v_fmamk_f32 v129, v72, 0x3ee437d1, v128
	v_dual_fmac_f32 v119, 0xbe8c1d8e, v73 :: v_dual_add_f32 v2, v123, v2
	v_fmamk_f32 v123, v74, 0xbe8c1d8e, v121
	s_delay_alu instid0(VALU_DEP_3) | instskip(SKIP_1) | instid1(VALU_DEP_4)
	v_add_f32_e32 v3, v129, v3
	v_add_f32_e32 v45, v124, v45
	v_add_f32_e32 v2, v120, v2
	s_delay_alu instid0(VALU_DEP_3) | instskip(NEXT) | instid1(VALU_DEP_3)
	v_dual_mul_f32 v120, 0x3f7ee86f, v90 :: v_dual_add_f32 v3, v123, v3
	v_add_f32_e32 v119, v119, v45
	v_fmamk_f32 v123, v76, 0x3dbcf732, v122
	v_add_f32_e32 v45, v0, v1
	s_delay_alu instid0(VALU_DEP_2) | instskip(SKIP_1) | instid1(VALU_DEP_1)
	v_add_f32_e32 v1, v123, v3
	v_fma_f32 v118, 0x3ee437d1, v72, -v128
	v_add_f32_e32 v117, v118, v117
	v_fma_f32 v118, 0xbe8c1d8e, v74, -v121
	v_fma_f32 v121, 0x3dbcf732, v75, -v120
	s_delay_alu instid0(VALU_DEP_1) | instskip(SKIP_1) | instid1(VALU_DEP_1)
	v_dual_add_f32 v117, v118, v117 :: v_dual_add_f32 v0, v121, v2
	v_fma_f32 v118, 0x3dbcf732, v76, -v122
	v_dual_fmac_f32 v120, 0x3dbcf732, v75 :: v_dual_add_f32 v3, v118, v117
	s_delay_alu instid0(VALU_DEP_1)
	v_add_f32_e32 v2, v120, v119
	v_cmpx_gt_u32_e32 44, v38
	s_cbranch_execz .LBB0_22
; %bb.21:
	v_dual_mul_f32 v119, 0xbf59a7d5, v61 :: v_dual_mul_f32 v120, 0xbf59a7d5, v62
	v_dual_mul_f32 v123, 0x3ee437d1, v63 :: v_dual_mul_f32 v124, 0x3ee437d1, v64
	;; [unrolled: 1-line block ×3, first 2 shown]
	s_delay_alu instid0(VALU_DEP_3) | instskip(SKIP_1) | instid1(VALU_DEP_2)
	v_dual_add_f32 v115, v115, v120 :: v_dual_mul_f32 v120, 0x3f3d2fb0, v71
	v_dual_mul_f32 v117, 0xbf1a4643, v61 :: v_dual_mul_f32 v118, 0xbf1a4643, v62
	v_dual_add_f32 v114, v114, v124 :: v_dual_add_f32 v115, v47, v115
	v_dual_mul_f32 v124, 0xbf7ba420, v73 :: v_dual_sub_f32 v103, v119, v103
	v_dual_mul_f32 v131, 0xbf1a4643, v67 :: v_dual_mul_f32 v132, 0xbf1a4643, v68
	s_delay_alu instid0(VALU_DEP_3) | instskip(NEXT) | instid1(VALU_DEP_3)
	v_dual_mul_f32 v137, 0x3f3d2fb0, v72 :: v_dual_add_f32 v114, v114, v115
	v_dual_mul_f32 v140, 0xbf7ba420, v74 :: v_dual_add_f32 v103, v46, v103
	;; [unrolled: 1-line block ×3, first 2 shown]
	v_dual_mul_f32 v115, 0x3f3d2fb0, v74 :: v_dual_sub_f32 v104, v123, v104
	v_dual_mul_f32 v121, 0xbe8c1d8e, v63 :: v_dual_mul_f32 v122, 0xbe8c1d8e, v64
	v_dual_mul_f32 v135, 0x3f6eb680, v69 :: v_dual_mul_f32 v136, 0x3f6eb680, v70
	s_delay_alu instid0(VALU_DEP_4) | instskip(SKIP_4) | instid1(VALU_DEP_3)
	v_dual_add_f32 v110, v110, v114 :: v_dual_add_f32 v111, v111, v132
	v_dual_mul_f32 v114, 0xbe8c1d8e, v75 :: v_dual_add_f32 v55, v55, v118
	v_dual_add_f32 v103, v104, v103 :: v_dual_sub_f32 v104, v127, v106
	v_dual_mul_f32 v125, 0x3f6eb680, v65 :: v_dual_mul_f32 v126, 0x3f6eb680, v66
	v_dual_mul_f32 v138, 0xbf7ba420, v71 :: v_dual_mul_f32 v139, 0xbf7ba420, v72
	v_dual_mul_f32 v106, 0xbe8c1d8e, v76 :: v_dual_add_f32 v103, v104, v103
	v_dual_add_f32 v108, v108, v136 :: v_dual_sub_f32 v101, v131, v101
	v_add_f32_e32 v110, v111, v110
	v_dual_add_f32 v55, v47, v55 :: v_dual_add_f32 v54, v54, v122
	v_dual_mul_f32 v129, 0xbf59a7d5, v67 :: v_dual_mul_f32 v130, 0xbf59a7d5, v68
	s_delay_alu instid0(VALU_DEP_3) | instskip(SKIP_1) | instid1(VALU_DEP_4)
	v_dual_add_f32 v101, v101, v103 :: v_dual_add_f32 v104, v108, v110
	v_dual_sub_f32 v103, v135, v105 :: v_dual_add_f32 v108, v109, v139
	v_dual_add_f32 v54, v54, v55 :: v_dual_add_f32 v53, v53, v126
	v_dual_mul_f32 v133, 0x3dbcf732, v69 :: v_dual_mul_f32 v134, 0x3dbcf732, v70
	s_delay_alu instid0(VALU_DEP_3) | instskip(NEXT) | instid1(VALU_DEP_4)
	v_add_f32_e32 v101, v103, v101
	v_add_f32_e32 v55, v108, v104
	s_delay_alu instid0(VALU_DEP_4) | instskip(SKIP_3) | instid1(VALU_DEP_4)
	v_dual_add_f32 v104, v112, v115 :: v_dual_add_f32 v53, v53, v54
	v_dual_add_f32 v54, v93, v130 :: v_dual_sub_f32 v103, v138, v107
	v_add_f32_e32 v93, v116, v106
	v_sub_f32_e32 v51, v117, v51
	v_add_f32_e32 v55, v104, v55
	s_delay_alu instid0(VALU_DEP_4) | instskip(SKIP_2) | instid1(VALU_DEP_3)
	v_dual_add_f32 v53, v54, v53 :: v_dual_add_f32 v54, v95, v134
	v_dual_add_f32 v101, v103, v101 :: v_dual_sub_f32 v50, v125, v50
	v_dual_sub_f32 v95, v119, v102 :: v_dual_sub_f32 v102, v121, v49
	v_add_f32_e32 v53, v54, v53
	v_dual_add_f32 v54, v98, v137 :: v_dual_mul_f32 v107, 0xbf763a35, v79
	v_add_f32_e32 v49, v93, v55
	v_dual_mul_f32 v128, 0x3ee437d1, v75 :: v_dual_mul_f32 v123, 0x3ee437d1, v76
	s_delay_alu instid0(VALU_DEP_3)
	v_dual_add_f32 v53, v54, v53 :: v_dual_add_f32 v54, v99, v140
	v_add_f32_e32 v51, v46, v51
	v_mul_f32_e32 v103, 0x3f2c7751, v82
	v_mul_f32_e32 v106, 0xbf65296c, v84
	;; [unrolled: 1-line block ×3, first 2 shown]
	v_add_f32_e32 v53, v54, v53
	v_fmamk_f32 v54, v62, 0xbe8c1d8e, v107
	v_dual_add_f32 v51, v102, v51 :: v_dual_mul_f32 v102, 0x3f06c442, v81
	v_mul_f32_e32 v98, 0x3f06c442, v78
	v_mul_f32_e32 v125, 0xbe3c28d5, v78
	s_delay_alu instid0(VALU_DEP_4) | instskip(NEXT) | instid1(VALU_DEP_4)
	v_add_f32_e32 v54, v47, v54
	v_dual_add_f32 v50, v50, v51 :: v_dual_sub_f32 v51, v129, v48
	v_dual_add_f32 v55, v95, v101 :: v_dual_mul_f32 v132, 0x3f2c7751, v92
	v_mul_f32_e32 v105, 0x3eb8f4ab, v84
	v_mul_f32_e32 v126, 0x3f763a35, v80
	s_delay_alu instid0(VALU_DEP_4) | instskip(SKIP_3) | instid1(VALU_DEP_4)
	v_dual_add_f32 v50, v51, v50 :: v_dual_sub_f32 v51, v133, v52
	v_dual_sub_f32 v93, v114, v113 :: v_dual_add_f32 v52, v100, v123
	v_fmamk_f32 v121, v76, 0x3f3d2fb0, v132
	v_sub_f32_e32 v96, v128, v96
	v_add_f32_e32 v50, v51, v50
	s_delay_alu instid0(VALU_DEP_4) | instskip(SKIP_3) | instid1(VALU_DEP_4)
	v_dual_add_f32 v48, v93, v55 :: v_dual_sub_f32 v93, v120, v94
	v_mul_f32_e32 v120, 0x3f7ee86f, v89
	v_add_f32_e32 v51, v52, v53
	v_fmamk_f32 v53, v66, 0x3f3d2fb0, v103
	v_dual_fmamk_f32 v55, v64, 0xbf59a7d5, v102 :: v_dual_add_f32 v50, v93, v50
	v_mul_f32_e32 v94, 0xbf65296c, v83
	v_mul_f32_e32 v134, 0x3f2c7751, v90
	;; [unrolled: 1-line block ×3, first 2 shown]
	s_delay_alu instid0(VALU_DEP_4)
	v_add_f32_e32 v52, v55, v54
	v_sub_f32_e32 v54, v124, v97
	v_fma_f32 v55, 0xbf59a7d5, v63, -v98
	v_mul_f32_e32 v97, 0xbeb8f4ab, v88
	v_mul_f32_e32 v124, 0xbf7ee86f, v77
	v_fma_f32 v138, 0x3f3d2fb0, v75, -v134
	v_add_f32_e32 v50, v54, v50
	v_fma_f32 v54, 0xbe8c1d8e, v61, -v99
	v_mul_f32_e32 v93, 0x3f2c7751, v80
	v_fma_f32 v108, 0x3f6eb680, v73, -v97
	s_delay_alu instid0(VALU_DEP_4) | instskip(NEXT) | instid1(VALU_DEP_4)
	v_dual_mul_f32 v117, 0xbf4c4adb, v92 :: v_dual_add_f32 v50, v96, v50
	v_dual_add_f32 v54, v46, v54 :: v_dual_mul_f32 v131, 0xbf4c4adb, v81
	v_mul_f32_e32 v116, 0x3f4c4adb, v88
	s_delay_alu instid0(VALU_DEP_3) | instskip(SKIP_1) | instid1(VALU_DEP_4)
	v_fmamk_f32 v101, v76, 0xbf1a4643, v117
	v_dual_mul_f32 v128, 0xbf65296c, v85 :: v_dual_mul_f32 v129, 0xbf65296c, v79
	v_add_f32_e32 v54, v55, v54
	v_add_f32_e32 v52, v53, v52
	v_fma_f32 v55, 0x3f3d2fb0, v65, -v93
	v_fmamk_f32 v53, v68, 0x3ee437d1, v106
	v_fma_f32 v123, 0xbf1a4643, v73, -v116
	v_dual_mul_f32 v130, 0xbf06c442, v87 :: v_dual_add_f32 v33, v47, v33
	s_delay_alu instid0(VALU_DEP_4) | instskip(NEXT) | instid1(VALU_DEP_4)
	v_add_f32_e32 v54, v55, v54
	v_dual_add_f32 v52, v53, v52 :: v_dual_mul_f32 v119, 0xbe3c28d5, v86
	v_fma_f32 v55, 0x3ee437d1, v67, -v94
	v_mul_f32_e32 v110, 0xbeb8f4ab, v91
	v_mul_f32_e32 v118, 0x3e3c28d5, v82
	;; [unrolled: 1-line block ×3, first 2 shown]
	v_fmamk_f32 v53, v70, 0xbf7ba420, v119
	v_add_f32_e32 v32, v46, v32
	v_fma_f32 v102, 0xbf59a7d5, v64, -v102
	v_fmac_f32_e32 v98, 0xbf59a7d5, v63
	v_add_f32_e32 v33, v33, v35
	v_dual_add_f32 v52, v53, v52 :: v_dual_fmamk_f32 v53, v72, 0x3dbcf732, v120
	v_dual_add_f32 v32, v32, v34 :: v_dual_mul_f32 v35, 0x3f2c7751, v85
	s_delay_alu instid0(VALU_DEP_3) | instskip(NEXT) | instid1(VALU_DEP_3)
	v_dual_fmac_f32 v134, 0x3f3d2fb0, v75 :: v_dual_add_f32 v29, v33, v29
	v_dual_add_f32 v52, v53, v52 :: v_dual_fmamk_f32 v53, v74, 0x3f6eb680, v110
	s_delay_alu instid0(VALU_DEP_3) | instskip(SKIP_2) | instid1(VALU_DEP_4)
	v_dual_mul_f32 v95, 0xbe3c28d5, v85 :: v_dual_add_f32 v28, v32, v28
	v_mul_f32_e32 v133, 0xbf65296c, v77
	v_dual_mul_f32 v32, 0xbf7ee86f, v81 :: v_dual_mul_f32 v33, 0xbf7ee86f, v91
	v_dual_add_f32 v52, v53, v52 :: v_dual_add_f32 v53, v55, v54
	s_delay_alu instid0(VALU_DEP_4)
	v_fma_f32 v54, 0xbf7ba420, v69, -v95
	v_mul_f32_e32 v96, 0x3f7ee86f, v87
	v_add_f32_e32 v28, v28, v30
	v_fmamk_f32 v30, v64, 0x3dbcf732, v32
	v_fma_f32 v32, 0x3dbcf732, v64, -v32
	v_add_f32_e32 v53, v54, v53
	v_fma_f32 v54, 0x3dbcf732, v71, -v96
	v_mul_f32_e32 v111, 0xbf7ee86f, v79
	v_add_f32_e32 v29, v29, v31
	v_dual_mul_f32 v31, 0xbf4c4adb, v82 :: v_dual_add_f32 v24, v28, v24
	s_delay_alu instid0(VALU_DEP_4) | instskip(SKIP_1) | instid1(VALU_DEP_4)
	v_dual_add_f32 v54, v54, v53 :: v_dual_add_f32 v53, v101, v52
	v_mul_f32_e32 v101, 0xbf4c4adb, v90
	v_dual_fmac_f32 v96, 0x3dbcf732, v71 :: v_dual_add_f32 v25, v29, v25
	s_delay_alu instid0(VALU_DEP_3)
	v_add_f32_e32 v52, v108, v54
	v_fma_f32 v108, 0xbf7ba420, v63, -v125
	v_fmamk_f32 v55, v62, 0x3dbcf732, v111
	v_mul_f32_e32 v112, 0xbe3c28d5, v81
	v_fma_f32 v109, 0xbf1a4643, v75, -v101
	v_dual_add_f32 v24, v24, v26 :: v_dual_add_f32 v25, v25, v27
	s_delay_alu instid0(VALU_DEP_3) | instskip(SKIP_1) | instid1(VALU_DEP_4)
	v_dual_add_f32 v55, v47, v55 :: v_dual_fmamk_f32 v100, v64, 0xbf7ba420, v112
	v_mul_f32_e32 v104, 0x3f763a35, v82
	v_dual_add_f32 v52, v109, v52 :: v_dual_fmamk_f32 v109, v64, 0xbf1a4643, v131
	s_delay_alu instid0(VALU_DEP_4) | instskip(NEXT) | instid1(VALU_DEP_3)
	v_add_f32_e32 v21, v25, v21
	v_dual_add_f32 v55, v100, v55 :: v_dual_fmamk_f32 v100, v66, 0xbe8c1d8e, v104
	v_fmac_f32_e32 v99, 0xbe8c1d8e, v61
	v_fmac_f32_e32 v93, 0x3f3d2fb0, v65
	s_delay_alu instid0(VALU_DEP_4) | instskip(NEXT) | instid1(VALU_DEP_4)
	v_dual_add_f32 v21, v21, v23 :: v_dual_mul_f32 v140, 0xbe3c28d5, v84
	v_add_f32_e32 v54, v100, v55
	v_fma_f32 v100, 0x3dbcf732, v61, -v124
	v_fmamk_f32 v55, v68, 0x3f6eb680, v105
	s_delay_alu instid0(VALU_DEP_4) | instskip(SKIP_1) | instid1(VALU_DEP_4)
	v_dual_add_f32 v17, v21, v17 :: v_dual_fmamk_f32 v28, v74, 0x3dbcf732, v33
	v_fmamk_f32 v26, v68, 0xbf7ba420, v140
	v_add_f32_e32 v100, v46, v100
	s_delay_alu instid0(VALU_DEP_3) | instskip(SKIP_1) | instid1(VALU_DEP_3)
	v_dual_add_f32 v54, v55, v54 :: v_dual_add_f32 v17, v17, v19
	v_mul_f32_e32 v23, 0xbf06c442, v92
	v_dual_fmac_f32 v95, 0xbf7ba420, v69 :: v_dual_add_f32 v100, v108, v100
	v_fma_f32 v108, 0xbe8c1d8e, v65, -v126
	v_mul_f32_e32 v113, 0xbf65296c, v86
	v_add_f32_e32 v13, v17, v13
	s_delay_alu instid0(VALU_DEP_3) | instskip(NEXT) | instid1(VALU_DEP_3)
	v_dual_fmac_f32 v97, 0x3f6eb680, v73 :: v_dual_add_f32 v100, v108, v100
	v_fmamk_f32 v55, v70, 0x3ee437d1, v113
	s_delay_alu instid0(VALU_DEP_1) | instskip(NEXT) | instid1(VALU_DEP_1)
	v_dual_add_f32 v54, v55, v54 :: v_dual_fmamk_f32 v55, v72, 0xbf59a7d5, v114
	v_dual_mul_f32 v115, 0x3f4c4adb, v91 :: v_dual_add_f32 v54, v55, v54
	s_delay_alu instid0(VALU_DEP_1) | instskip(NEXT) | instid1(VALU_DEP_1)
	v_fmamk_f32 v55, v74, 0xbf1a4643, v115
	v_dual_mul_f32 v127, 0x3eb8f4ab, v83 :: v_dual_add_f32 v54, v55, v54
	s_delay_alu instid0(VALU_DEP_1) | instskip(SKIP_1) | instid1(VALU_DEP_2)
	v_fma_f32 v108, 0x3f6eb680, v67, -v127
	v_fmac_f32_e32 v127, 0x3f6eb680, v67
	v_add_f32_e32 v55, v108, v100
	v_fma_f32 v100, 0x3ee437d1, v69, -v128
	s_delay_alu instid0(VALU_DEP_1) | instskip(SKIP_1) | instid1(VALU_DEP_2)
	v_dual_fmamk_f32 v108, v62, 0x3ee437d1, v129 :: v_dual_add_f32 v55, v100, v55
	v_fma_f32 v100, 0xbf59a7d5, v71, -v130
	v_dual_add_f32 v108, v47, v108 :: v_dual_fmac_f32 v101, 0xbf1a4643, v75
	s_delay_alu instid0(VALU_DEP_2) | instskip(NEXT) | instid1(VALU_DEP_2)
	v_add_f32_e32 v122, v100, v55
	v_dual_add_f32 v108, v109, v108 :: v_dual_fmamk_f32 v109, v66, 0xbf7ba420, v118
	v_add_f32_e32 v55, v121, v54
	v_mul_f32_e32 v121, 0xbf4c4adb, v78
	s_delay_alu instid0(VALU_DEP_4) | instskip(SKIP_4) | instid1(VALU_DEP_4)
	v_add_f32_e32 v54, v123, v122
	v_fma_f32 v123, 0x3ee437d1, v61, -v133
	v_mul_f32_e32 v100, 0x3f763a35, v84
	v_add_f32_e32 v109, v109, v108
	v_fma_f32 v137, 0xbf1a4643, v63, -v121
	v_dual_mul_f32 v108, 0x3f2c7751, v86 :: v_dual_add_f32 v123, v46, v123
	v_add_f32_e32 v54, v138, v54
	v_mul_f32_e32 v84, 0xbf7ee86f, v84
	v_fmac_f32_e32 v133, 0x3ee437d1, v61
	s_delay_alu instid0(VALU_DEP_4) | instskip(SKIP_3) | instid1(VALU_DEP_3)
	v_dual_fmamk_f32 v136, v70, 0x3f3d2fb0, v108 :: v_dual_add_f32 v137, v137, v123
	v_mul_f32_e32 v123, 0x3f763a35, v83
	v_fmamk_f32 v122, v68, 0xbe8c1d8e, v100
	v_fmac_f32_e32 v125, 0xbf7ba420, v63
	v_fma_f32 v34, 0xbe8c1d8e, v67, -v123
	s_delay_alu instid0(VALU_DEP_3) | instskip(SKIP_3) | instid1(VALU_DEP_4)
	v_add_f32_e32 v135, v122, v109
	v_mul_f32_e32 v109, 0xbeb8f4ab, v89
	v_mul_f32_e32 v122, 0x3e3c28d5, v80
	v_fmac_f32_e32 v123, 0xbe8c1d8e, v67
	v_add_f32_e32 v135, v136, v135
	s_delay_alu instid0(VALU_DEP_4) | instskip(NEXT) | instid1(VALU_DEP_4)
	v_fmamk_f32 v136, v72, 0x3f6eb680, v109
	v_fma_f32 v139, 0xbf7ba420, v65, -v122
	s_delay_alu instid0(VALU_DEP_2) | instskip(NEXT) | instid1(VALU_DEP_2)
	v_dual_fmac_f32 v122, 0xbf7ba420, v65 :: v_dual_add_f32 v135, v136, v135
	v_dual_mul_f32 v136, 0xbf2c7751, v79 :: v_dual_add_f32 v137, v139, v137
	s_delay_alu instid0(VALU_DEP_2) | instskip(NEXT) | instid1(VALU_DEP_2)
	v_add_f32_e32 v28, v28, v135
	v_fmamk_f32 v138, v62, 0x3f3d2fb0, v136
	s_delay_alu instid0(VALU_DEP_3) | instskip(SKIP_2) | instid1(VALU_DEP_4)
	v_add_f32_e32 v34, v34, v137
	v_fma_f32 v137, 0x3f3d2fb0, v69, -v35
	v_mul_f32_e32 v139, 0xbeb8f4ab, v87
	v_dual_mul_f32 v135, 0x3f06c442, v85 :: v_dual_add_f32 v138, v47, v138
	s_delay_alu instid0(VALU_DEP_3) | instskip(SKIP_2) | instid1(VALU_DEP_4)
	v_dual_mul_f32 v85, 0xbf763a35, v85 :: v_dual_add_f32 v34, v137, v34
	v_mul_f32_e32 v137, 0xbf7ee86f, v88
	v_dual_mul_f32 v27, 0x3f06c442, v86 :: v_dual_add_f32 v20, v24, v20
	v_add_f32_e32 v30, v30, v138
	v_fmamk_f32 v138, v66, 0xbf1a4643, v31
	s_delay_alu instid0(VALU_DEP_4) | instskip(NEXT) | instid1(VALU_DEP_4)
	v_fma_f32 v19, 0x3dbcf732, v73, -v137
	v_dual_fmamk_f32 v25, v70, 0xbf59a7d5, v27 :: v_dual_add_f32 v20, v20, v22
	s_delay_alu instid0(VALU_DEP_3) | instskip(SKIP_1) | instid1(VALU_DEP_3)
	v_dual_mul_f32 v22, 0x3f763a35, v89 :: v_dual_add_f32 v29, v138, v30
	v_fma_f32 v30, 0x3f6eb680, v71, -v139
	v_dual_mul_f32 v89, 0xbf4c4adb, v89 :: v_dual_add_f32 v16, v20, v16
	s_delay_alu instid0(VALU_DEP_3) | instskip(NEXT) | instid1(VALU_DEP_3)
	v_dual_mul_f32 v87, 0xbf4c4adb, v87 :: v_dual_add_f32 v24, v26, v29
	v_add_f32_e32 v20, v30, v34
	v_mul_f32_e32 v26, 0xbf2c7751, v77
	s_delay_alu instid0(VALU_DEP_4) | instskip(SKIP_1) | instid1(VALU_DEP_4)
	v_add_f32_e32 v16, v16, v18
	v_fmamk_f32 v34, v76, 0xbf59a7d5, v23
	v_dual_mul_f32 v30, 0xbe3c28d5, v83 :: v_dual_add_f32 v19, v19, v20
	s_delay_alu instid0(VALU_DEP_4) | instskip(NEXT) | instid1(VALU_DEP_4)
	v_fma_f32 v29, 0x3f3d2fb0, v61, -v26
	v_add_f32_e32 v12, v16, v12
	v_mul_f32_e32 v18, 0xbf4c4adb, v80
	v_dual_add_f32 v24, v25, v24 :: v_dual_mul_f32 v83, 0xbf7ee86f, v83
	s_delay_alu instid0(VALU_DEP_4) | instskip(NEXT) | instid1(VALU_DEP_4)
	v_dual_add_f32 v21, v46, v29 :: v_dual_mul_f32 v138, 0xbf7ee86f, v78
	v_add_f32_e32 v141, v12, v14
	v_fma_f32 v12, 0xbf59a7d5, v69, -v135
	v_mul_f32_e32 v77, 0xbeb8f4ab, v77
	v_fmac_f32_e32 v35, 0x3f3d2fb0, v69
	v_fma_f32 v29, 0x3dbcf732, v63, -v138
	v_dual_add_f32 v8, v141, v8 :: v_dual_fmac_f32 v137, 0x3dbcf732, v73
	v_fmac_f32_e32 v121, 0xbf1a4643, v63
	v_fmac_f32_e32 v26, 0x3f3d2fb0, v61
	s_delay_alu instid0(VALU_DEP_4)
	v_add_f32_e32 v21, v29, v21
	v_fma_f32 v29, 0xbf1a4643, v65, -v18
	v_add_f32_e32 v8, v8, v10
	v_fma_f32 v10, 0x3dbcf732, v72, -v120
	v_fmac_f32_e32 v128, 0x3ee437d1, v69
	v_fmac_f32_e32 v138, 0x3dbcf732, v63
	v_add_f32_e32 v20, v29, v21
	v_fma_f32 v21, 0xbf7ba420, v67, -v30
	v_dual_mul_f32 v29, 0xbf06c442, v90 :: v_dual_add_f32 v4, v8, v4
	v_fma_f32 v8, 0x3f6eb680, v74, -v110
	v_fma_f32 v31, 0xbf1a4643, v66, -v31
	s_delay_alu instid0(VALU_DEP_4) | instskip(SKIP_4) | instid1(VALU_DEP_4)
	v_add_f32_e32 v16, v21, v20
	v_mul_f32_e32 v20, 0x3f65296c, v91
	v_add_f32_e32 v21, v13, v15
	v_fmamk_f32 v25, v72, 0xbe8c1d8e, v22
	v_fma_f32 v17, 0xbf59a7d5, v75, -v29
	v_dual_add_f32 v16, v12, v16 :: v_dual_fmamk_f32 v15, v74, 0x3ee437d1, v20
	v_add_f32_e32 v13, v34, v28
	v_mul_f32_e32 v28, 0x3eb8f4ab, v92
	v_add_f32_e32 v14, v25, v24
	v_fma_f32 v24, 0xbe8c1d8e, v71, -v142
	v_dual_mul_f32 v25, 0x3f65296c, v88 :: v_dual_add_f32 v12, v17, v19
	v_mul_f32_e32 v19, 0xbeb8f4ab, v79
	v_mul_f32_e32 v79, 0xbf2c7751, v81
	s_delay_alu instid0(VALU_DEP_4) | instskip(NEXT) | instid1(VALU_DEP_4)
	v_dual_mul_f32 v81, 0xbf65296c, v82 :: v_dual_add_f32 v16, v24, v16
	v_fma_f32 v17, 0x3ee437d1, v73, -v25
	s_delay_alu instid0(VALU_DEP_4) | instskip(SKIP_2) | instid1(VALU_DEP_3)
	v_dual_fmamk_f32 v34, v62, 0x3f6eb680, v19 :: v_dual_add_f32 v9, v21, v9
	v_mul_f32_e32 v78, 0xbf2c7751, v78
	v_add_f32_e32 v14, v15, v14
	v_dual_add_f32 v16, v17, v16 :: v_dual_add_f32 v17, v47, v34
	s_delay_alu instid0(VALU_DEP_4) | instskip(SKIP_3) | instid1(VALU_DEP_4)
	v_dual_fmamk_f32 v34, v64, 0x3f3d2fb0, v79 :: v_dual_add_f32 v9, v9, v11
	v_mul_f32_e32 v91, 0xbf06c442, v91
	v_fmac_f32_e32 v29, 0xbf59a7d5, v75
	v_fma_f32 v19, 0x3f6eb680, v62, -v19
	v_add_f32_e32 v17, v34, v17
	v_dual_fmamk_f32 v34, v66, 0x3ee437d1, v81 :: v_dual_add_f32 v5, v9, v5
	v_fmac_f32_e32 v25, 0x3ee437d1, v73
	v_fma_f32 v27, 0xbf59a7d5, v70, -v27
	v_fma_f32 v22, 0xbe8c1d8e, v72, -v22
	s_delay_alu instid0(VALU_DEP_4)
	v_dual_add_f32 v17, v34, v17 :: v_dual_fmamk_f32 v34, v68, 0x3dbcf732, v84
	v_fmamk_f32 v15, v76, 0x3f6eb680, v28
	v_add_f32_e32 v5, v5, v7
	v_fma_f32 v20, 0x3ee437d1, v74, -v20
	v_fmac_f32_e32 v18, 0xbf1a4643, v65
	v_dual_add_f32 v17, v34, v17 :: v_dual_mul_f32 v24, 0x3eb8f4ab, v90
	v_dual_add_f32 v15, v15, v14 :: v_dual_fmac_f32 v30, 0xbf7ba420, v67
	v_fmac_f32_e32 v142, 0xbe8c1d8e, v71
	v_add_f32_e32 v19, v47, v19
	s_delay_alu instid0(VALU_DEP_4) | instskip(SKIP_2) | instid1(VALU_DEP_3)
	v_fma_f32 v82, 0x3f6eb680, v75, -v24
	v_fmac_f32_e32 v116, 0xbf1a4643, v73
	v_fmac_f32_e32 v139, 0x3f6eb680, v71
	v_dual_fmac_f32 v135, 0xbf59a7d5, v69 :: v_dual_add_f32 v14, v82, v16
	v_mul_f32_e32 v82, 0xbf763a35, v86
	v_fma_f32 v16, 0x3f6eb680, v61, -v77
	v_fma_f32 v86, 0x3f3d2fb0, v63, -v78
	v_fmac_f32_e32 v77, 0x3f6eb680, v61
	v_fmac_f32_e32 v130, 0xbf59a7d5, v71
	v_fmamk_f32 v34, v70, 0xbe8c1d8e, v82
	v_add_f32_e32 v16, v46, v16
	s_delay_alu instid0(VALU_DEP_2) | instskip(SKIP_1) | instid1(VALU_DEP_1)
	v_dual_fmac_f32 v78, 0x3f3d2fb0, v63 :: v_dual_add_f32 v17, v34, v17
	v_fmamk_f32 v34, v72, 0xbf1a4643, v89
	v_dual_fmac_f32 v24, 0x3f6eb680, v75 :: v_dual_add_f32 v17, v34, v17
	v_fma_f32 v34, 0xbe8c1d8e, v62, -v107
	s_delay_alu instid0(VALU_DEP_1) | instskip(NEXT) | instid1(VALU_DEP_1)
	v_dual_fmamk_f32 v107, v74, 0xbf59a7d5, v91 :: v_dual_add_f32 v34, v47, v34
	v_dual_add_f32 v17, v107, v17 :: v_dual_add_f32 v34, v102, v34
	v_fma_f32 v102, 0x3f3d2fb0, v66, -v103
	s_delay_alu instid0(VALU_DEP_1) | instskip(SKIP_1) | instid1(VALU_DEP_1)
	v_dual_mul_f32 v80, 0xbf65296c, v80 :: v_dual_add_f32 v21, v102, v34
	v_fma_f32 v34, 0x3ee437d1, v68, -v106
	v_dual_mul_f32 v92, 0xbe3c28d5, v92 :: v_dual_add_f32 v11, v34, v21
	s_delay_alu instid0(VALU_DEP_1) | instskip(NEXT) | instid1(VALU_DEP_4)
	v_dual_add_f32 v16, v86, v16 :: v_dual_fmamk_f32 v107, v76, 0xbf7ba420, v92
	v_fma_f32 v86, 0x3ee437d1, v65, -v80
	v_fma_f32 v21, 0xbf7ba420, v70, -v119
	v_fmac_f32_e32 v80, 0x3ee437d1, v65
	s_delay_alu instid0(VALU_DEP_3) | instskip(SKIP_1) | instid1(VALU_DEP_4)
	v_dual_add_f32 v17, v107, v17 :: v_dual_add_f32 v16, v86, v16
	v_fma_f32 v86, 0x3dbcf732, v67, -v83
	v_dual_add_f32 v9, v21, v11 :: v_dual_mul_f32 v90, 0xbe3c28d5, v90
	v_fma_f32 v11, 0xbf1a4643, v74, -v115
	v_add_f32_e32 v4, v4, v6
	v_fma_f32 v6, 0x3dbcf732, v62, -v111
	s_delay_alu instid0(VALU_DEP_4) | instskip(SKIP_2) | instid1(VALU_DEP_4)
	v_add_f32_e32 v7, v10, v9
	v_add_f32_e32 v16, v86, v16
	v_fma_f32 v86, 0xbe8c1d8e, v69, -v85
	v_dual_add_f32 v9, v46, v99 :: v_dual_add_f32 v6, v47, v6
	s_delay_alu instid0(VALU_DEP_4) | instskip(SKIP_1) | instid1(VALU_DEP_4)
	v_add_f32_e32 v7, v8, v7
	v_fma_f32 v8, 0xbf1a4643, v76, -v117
	v_add_f32_e32 v16, v86, v16
	v_fma_f32 v86, 0xbf1a4643, v71, -v87
	;; [unrolled: 2-line block ×4, first 2 shown]
	v_add_f32_e32 v16, v86, v16
	v_mul_f32_e32 v86, 0xbf06c442, v88
	v_add_f32_e32 v8, v93, v9
	v_add_f32_e32 v6, v10, v6
	v_fma_f32 v9, 0xbe8c1d8e, v66, -v104
	v_fma_f32 v21, 0xbf1a4643, v64, -v131
	v_fma_f32 v88, 0xbf59a7d5, v73, -v86
	v_fmac_f32_e32 v86, 0xbf59a7d5, v73
	v_fmac_f32_e32 v90, 0xbf7ba420, v75
	v_add_f32_e32 v6, v9, v6
	v_fma_f32 v9, 0x3f6eb680, v68, -v105
	v_dual_add_f32 v16, v88, v16 :: v_dual_fmac_f32 v83, 0x3dbcf732, v67
	v_fmac_f32_e32 v85, 0xbe8c1d8e, v69
	s_delay_alu instid0(VALU_DEP_3) | instskip(SKIP_1) | instid1(VALU_DEP_4)
	v_dual_fmac_f32 v87, 0xbf1a4643, v71 :: v_dual_add_f32 v6, v9, v6
	v_fma_f32 v9, 0x3ee437d1, v70, -v113
	v_add_f32_e32 v16, v34, v16
	v_add_f32_e32 v34, v46, v133
	s_delay_alu instid0(VALU_DEP_3) | instskip(SKIP_1) | instid1(VALU_DEP_3)
	v_add_f32_e32 v6, v9, v6
	v_fma_f32 v9, 0xbf59a7d5, v72, -v114
	v_add_f32_e32 v34, v121, v34
	s_delay_alu instid0(VALU_DEP_2) | instskip(NEXT) | instid1(VALU_DEP_1)
	v_add_f32_e32 v9, v9, v6
	v_dual_add_f32 v34, v122, v34 :: v_dual_add_f32 v9, v11, v9
	v_fma_f32 v11, 0x3f3d2fb0, v76, -v132
	s_delay_alu instid0(VALU_DEP_1) | instskip(NEXT) | instid1(VALU_DEP_1)
	v_dual_fmac_f32 v94, 0x3ee437d1, v67 :: v_dual_add_f32 v9, v11, v9
	v_add_f32_e32 v8, v94, v8
	s_delay_alu instid0(VALU_DEP_1) | instskip(NEXT) | instid1(VALU_DEP_1)
	v_add_f32_e32 v8, v95, v8
	v_add_f32_e32 v8, v96, v8
	s_delay_alu instid0(VALU_DEP_1) | instskip(NEXT) | instid1(VALU_DEP_1)
	v_add_f32_e32 v8, v97, v8
	v_add_f32_e32 v6, v101, v8
	v_fma_f32 v8, 0x3ee437d1, v62, -v129
	s_delay_alu instid0(VALU_DEP_1) | instskip(NEXT) | instid1(VALU_DEP_1)
	v_add_f32_e32 v8, v47, v8
	v_dual_fmac_f32 v124, 0x3dbcf732, v61 :: v_dual_add_f32 v11, v21, v8
	v_fma_f32 v21, 0xbf7ba420, v66, -v118
	s_delay_alu instid0(VALU_DEP_1) | instskip(SKIP_1) | instid1(VALU_DEP_1)
	v_add_f32_e32 v11, v21, v11
	v_fma_f32 v21, 0xbe8c1d8e, v68, -v100
	v_dual_add_f32 v10, v46, v124 :: v_dual_add_f32 v11, v21, v11
	v_fma_f32 v21, 0x3f3d2fb0, v70, -v108
	s_delay_alu instid0(VALU_DEP_2) | instskip(NEXT) | instid1(VALU_DEP_2)
	v_add_f32_e32 v10, v125, v10
	v_dual_fmac_f32 v126, 0xbe8c1d8e, v65 :: v_dual_add_f32 v11, v21, v11
	v_fma_f32 v21, 0x3f6eb680, v72, -v109
	s_delay_alu instid0(VALU_DEP_1) | instskip(SKIP_1) | instid1(VALU_DEP_1)
	v_add_f32_e32 v11, v21, v11
	v_fma_f32 v21, 0x3dbcf732, v74, -v33
	v_dual_add_f32 v10, v126, v10 :: v_dual_add_f32 v11, v21, v11
	s_delay_alu instid0(VALU_DEP_1) | instskip(SKIP_1) | instid1(VALU_DEP_1)
	v_add_f32_e32 v10, v127, v10
	v_fma_f32 v21, 0xbf59a7d5, v76, -v23
	v_dual_add_f32 v10, v128, v10 :: v_dual_add_f32 v11, v21, v11
	s_delay_alu instid0(VALU_DEP_1) | instskip(NEXT) | instid1(VALU_DEP_1)
	v_add_f32_e32 v10, v130, v10
	v_add_f32_e32 v10, v116, v10
	s_delay_alu instid0(VALU_DEP_1) | instskip(SKIP_1) | instid1(VALU_DEP_1)
	v_add_f32_e32 v8, v134, v10
	v_fma_f32 v10, 0x3f3d2fb0, v62, -v136
	v_add_f32_e32 v10, v47, v10
	s_delay_alu instid0(VALU_DEP_1) | instskip(SKIP_1) | instid1(VALU_DEP_2)
	v_add_f32_e32 v10, v32, v10
	v_add_f32_e32 v32, v123, v34
	;; [unrolled: 1-line block ×3, first 2 shown]
	v_fma_f32 v31, 0xbf7ba420, v68, -v140
	s_delay_alu instid0(VALU_DEP_3) | instskip(NEXT) | instid1(VALU_DEP_2)
	v_add_f32_e32 v32, v35, v32
	v_add_f32_e32 v10, v31, v10
	s_delay_alu instid0(VALU_DEP_2) | instskip(NEXT) | instid1(VALU_DEP_1)
	v_add_f32_e32 v23, v139, v32
	v_dual_add_f32 v10, v27, v10 :: v_dual_add_f32 v21, v137, v23
	v_add_f32_e32 v23, v46, v26
	v_fma_f32 v26, 0xbf7ba420, v76, -v92
	s_delay_alu instid0(VALU_DEP_3) | instskip(NEXT) | instid1(VALU_DEP_3)
	v_add_f32_e32 v22, v22, v10
	v_dual_add_f32 v10, v29, v21 :: v_dual_add_f32 v21, v138, v23
	s_delay_alu instid0(VALU_DEP_2) | instskip(SKIP_1) | instid1(VALU_DEP_3)
	v_dual_add_f32 v23, v46, v77 :: v_dual_add_f32 v20, v20, v22
	v_fma_f32 v22, 0x3f3d2fb0, v64, -v79
	v_add_f32_e32 v18, v18, v21
	v_fma_f32 v21, 0x3ee437d1, v66, -v81
	s_delay_alu instid0(VALU_DEP_3) | instskip(SKIP_1) | instid1(VALU_DEP_4)
	v_add_f32_e32 v19, v22, v19
	v_add_f32_e32 v22, v78, v23
	;; [unrolled: 1-line block ×3, first 2 shown]
	v_fma_f32 v23, 0x3f6eb680, v76, -v28
	s_delay_alu instid0(VALU_DEP_4) | instskip(SKIP_2) | instid1(VALU_DEP_2)
	v_add_f32_e32 v19, v21, v19
	v_fma_f32 v21, 0x3dbcf732, v68, -v84
	v_add_f32_e32 v22, v80, v22
	v_dual_add_f32 v18, v135, v18 :: v_dual_add_f32 v19, v21, v19
	v_fma_f32 v21, 0xbe8c1d8e, v70, -v82
	s_delay_alu instid0(VALU_DEP_3) | instskip(NEXT) | instid1(VALU_DEP_2)
	v_add_f32_e32 v22, v83, v22
	v_dual_add_f32 v18, v142, v18 :: v_dual_add_f32 v19, v21, v19
	v_fma_f32 v21, 0xbf1a4643, v72, -v89
	s_delay_alu instid0(VALU_DEP_3) | instskip(NEXT) | instid1(VALU_DEP_3)
	v_add_f32_e32 v22, v85, v22
	v_add_f32_e32 v18, v25, v18
	v_mul_u32_u24_e32 v25, 0x88, v38
	s_delay_alu instid0(VALU_DEP_4) | instskip(SKIP_2) | instid1(VALU_DEP_4)
	v_add_f32_e32 v19, v21, v19
	v_fma_f32 v21, 0xbf59a7d5, v74, -v91
	v_add_f32_e32 v22, v87, v22
	v_add3_u32 v25, 0, v25, v58
	s_delay_alu instid0(VALU_DEP_3) | instskip(NEXT) | instid1(VALU_DEP_3)
	v_dual_add_f32 v18, v24, v18 :: v_dual_add_f32 v21, v21, v19
	v_dual_add_f32 v22, v86, v22 :: v_dual_add_f32 v19, v23, v20
	s_delay_alu instid0(VALU_DEP_2) | instskip(NEXT) | instid1(VALU_DEP_2)
	v_add_f32_e32 v21, v26, v21
	v_add_f32_e32 v20, v90, v22
	ds_store_2addr_b64 v25, v[4:5], v[16:17] offset1:1
	ds_store_2addr_b64 v25, v[14:15], v[12:13] offset0:2 offset1:3
	ds_store_2addr_b64 v25, v[54:55], v[52:53] offset0:4 offset1:5
	;; [unrolled: 1-line block ×7, first 2 shown]
	ds_store_b64 v25, v[20:21] offset:128
.LBB0_22:
	s_wait_alu 0xfffe
	s_or_b32 exec_lo, exec_lo, s1
	global_wb scope:SCOPE_SE
	s_wait_dscnt 0x0
	s_barrier_signal -1
	s_barrier_wait -1
	global_inv scope:SCOPE_SE
	ds_load_2addr_b64 v[4:7], v39 offset0:68 offset1:187
	ds_load_2addr_b64 v[8:11], v60 offset0:127 offset1:246
	;; [unrolled: 1-line block ×3, first 2 shown]
	ds_load_b64 v[16:17], v57
	ds_load_b64 v[18:19], v39 offset:5032
	v_cmp_gt_u32_e64 s0, 51, v38
	s_delay_alu instid0(VALU_DEP_1)
	s_and_saveexec_b32 s1, s0
	s_cbranch_execz .LBB0_24
; %bb.23:
	v_add_nc_u32_e32 v0, 0x400, v39
	v_add_nc_u32_e32 v20, 0xc00, v39
	ds_load_2addr_b64 v[0:3], v0 offset0:8 offset1:195
	ds_load_2addr_b32 v[44:45], v20 offset0:252 offset1:253
	ds_load_b64 v[42:43], v39 offset:5576
.LBB0_24:
	s_wait_alu 0xfffe
	s_or_b32 exec_lo, exec_lo, s1
	v_and_b32_e32 v20, 0xff, v38
	v_add_nc_u16 v21, v38, 0x44
	s_delay_alu instid0(VALU_DEP_2) | instskip(NEXT) | instid1(VALU_DEP_1)
	v_mul_lo_u16 v20, 0xf1, v20
	v_lshrrev_b16 v32, 12, v20
	s_delay_alu instid0(VALU_DEP_3) | instskip(NEXT) | instid1(VALU_DEP_2)
	v_and_b32_e32 v20, 0xff, v21
	v_mul_lo_u16 v22, v32, 17
	s_delay_alu instid0(VALU_DEP_2) | instskip(NEXT) | instid1(VALU_DEP_2)
	v_mul_lo_u16 v20, 0xf1, v20
	v_sub_nc_u16 v22, v38, v22
	s_delay_alu instid0(VALU_DEP_2) | instskip(NEXT) | instid1(VALU_DEP_2)
	v_lshrrev_b16 v33, 12, v20
	v_and_b32_e32 v34, 0xff, v22
	s_delay_alu instid0(VALU_DEP_2) | instskip(NEXT) | instid1(VALU_DEP_2)
	v_mul_lo_u16 v20, v33, 17
	v_mul_u32_u24_e32 v22, 3, v34
	s_delay_alu instid0(VALU_DEP_2) | instskip(NEXT) | instid1(VALU_DEP_2)
	v_sub_nc_u16 v20, v21, v20
	v_lshlrev_b32_e32 v24, 3, v22
	s_delay_alu instid0(VALU_DEP_2)
	v_and_b32_e32 v35, 0xff, v20
	s_clause 0x1
	global_load_b128 v[20:23], v24, s[8:9]
	global_load_b64 v[28:29], v24, s[8:9] offset:16
	v_and_b32_e32 v32, 0xffff, v32
	s_wait_loadcnt_dscnt 0x2
	v_dual_mul_f32 v46, v29, v15 :: v_dual_and_b32 v33, 0xffff, v33
	v_mul_f32_e32 v29, v29, v14
	s_delay_alu instid0(VALU_DEP_3) | instskip(SKIP_1) | instid1(VALU_DEP_4)
	v_mad_u32_u24 v32, 0x220, v32, 0
	v_lshlrev_b32_e32 v34, 3, v34
	v_mad_u32_u24 v33, 0x220, v33, 0
	s_delay_alu instid0(VALU_DEP_4) | instskip(NEXT) | instid1(VALU_DEP_3)
	v_fmac_f32_e32 v29, v28, v15
	v_add3_u32 v32, v32, v34, v58
	v_mul_f32_e32 v34, v21, v7
	v_mul_u32_u24_e32 v25, 3, v35
	v_lshlrev_b32_e32 v35, 3, v35
	v_mul_f32_e32 v21, v21, v6
	s_delay_alu instid0(VALU_DEP_4) | instskip(NEXT) | instid1(VALU_DEP_4)
	v_fma_f32 v6, v20, v6, -v34
	v_lshlrev_b32_e32 v30, 3, v25
	s_delay_alu instid0(VALU_DEP_4)
	v_add3_u32 v33, v33, v35, v58
	v_mul_f32_e32 v35, v23, v11
	v_mul_f32_e32 v23, v23, v10
	s_clause 0x1
	global_load_b128 v[24:27], v30, s[8:9]
	global_load_b64 v[30:31], v30, s[8:9] offset:16
	v_fmac_f32_e32 v21, v20, v7
	v_fma_f32 v7, v22, v10, -v35
	v_fmac_f32_e32 v23, v22, v11
	v_fma_f32 v10, v28, v14, -v46
	global_wb scope:SCOPE_SE
	s_wait_loadcnt_dscnt 0x0
	s_barrier_signal -1
	s_barrier_wait -1
	global_inv scope:SCOPE_SE
	v_dual_mul_f32 v11, v25, v9 :: v_dual_mul_f32 v20, v27, v12
	v_dual_mul_f32 v14, v25, v8 :: v_dual_mul_f32 v15, v27, v13
	v_mul_f32_e32 v22, v31, v19
	v_mul_f32_e32 v25, v31, v18
	s_delay_alu instid0(VALU_DEP_4) | instskip(NEXT) | instid1(VALU_DEP_4)
	v_fma_f32 v27, v24, v8, -v11
	v_fmac_f32_e32 v14, v24, v9
	v_fma_f32 v8, v26, v12, -v15
	v_dual_fmac_f32 v20, v26, v13 :: v_dual_sub_f32 v11, v16, v7
	v_dual_sub_f32 v12, v17, v23 :: v_dual_sub_f32 v7, v6, v10
	v_fma_f32 v9, v30, v18, -v22
	v_dual_sub_f32 v10, v21, v29 :: v_dual_fmac_f32 v25, v30, v19
	s_delay_alu instid0(VALU_DEP_4) | instskip(NEXT) | instid1(VALU_DEP_4)
	v_fma_f32 v13, v16, 2.0, -v11
	v_fma_f32 v16, v17, 2.0, -v12
	;; [unrolled: 1-line block ×3, first 2 shown]
	s_delay_alu instid0(VALU_DEP_4) | instskip(SKIP_2) | instid1(VALU_DEP_3)
	v_fma_f32 v17, v21, 2.0, -v10
	v_dual_sub_f32 v18, v4, v8 :: v_dual_sub_f32 v21, v14, v25
	v_dual_sub_f32 v19, v5, v20 :: v_dual_sub_f32 v20, v27, v9
	;; [unrolled: 1-line block ×3, first 2 shown]
	s_delay_alu instid0(VALU_DEP_3) | instskip(NEXT) | instid1(VALU_DEP_3)
	v_fma_f32 v22, v4, 2.0, -v18
	v_fma_f32 v23, v5, 2.0, -v19
	s_delay_alu instid0(VALU_DEP_4) | instskip(SKIP_3) | instid1(VALU_DEP_3)
	v_fma_f32 v15, v27, 2.0, -v20
	v_fma_f32 v17, v14, 2.0, -v21
	v_dual_sub_f32 v6, v11, v10 :: v_dual_add_f32 v7, v12, v7
	v_dual_sub_f32 v4, v18, v21 :: v_dual_add_f32 v5, v19, v20
	v_dual_sub_f32 v14, v22, v15 :: v_dual_sub_f32 v15, v23, v17
	s_delay_alu instid0(VALU_DEP_3) | instskip(NEXT) | instid1(VALU_DEP_4)
	v_fma_f32 v10, v11, 2.0, -v6
	v_fma_f32 v11, v12, 2.0, -v7
	;; [unrolled: 1-line block ×8, first 2 shown]
	ds_store_2addr_b64 v32, v[8:9], v[6:7] offset0:34 offset1:51
	ds_store_2addr_b64 v32, v[12:13], v[10:11] offset1:17
	ds_store_2addr_b64 v33, v[18:19], v[16:17] offset1:17
	ds_store_2addr_b64 v33, v[14:15], v[4:5] offset0:34 offset1:51
	s_and_saveexec_b32 s1, s0
	s_cbranch_execz .LBB0_26
; %bb.25:
	v_add_nc_u16 v4, v38, 0x88
	s_delay_alu instid0(VALU_DEP_1) | instskip(NEXT) | instid1(VALU_DEP_1)
	v_and_b32_e32 v5, 0xff, v4
	v_mul_lo_u16 v5, 0xf1, v5
	s_delay_alu instid0(VALU_DEP_1) | instskip(NEXT) | instid1(VALU_DEP_1)
	v_lshrrev_b16 v10, 12, v5
	v_mul_lo_u16 v5, v10, 17
	s_delay_alu instid0(VALU_DEP_1) | instskip(NEXT) | instid1(VALU_DEP_1)
	v_sub_nc_u16 v4, v4, v5
	v_and_b32_e32 v11, 0xff, v4
	s_delay_alu instid0(VALU_DEP_1) | instskip(NEXT) | instid1(VALU_DEP_1)
	v_mul_u32_u24_e32 v4, 3, v11
	v_lshlrev_b32_e32 v8, 3, v4
	s_clause 0x1
	global_load_b128 v[4:7], v8, s[8:9]
	global_load_b64 v[8:9], v8, s[8:9] offset:16
	s_wait_loadcnt 0x1
	v_dual_mul_f32 v13, v3, v5 :: v_dual_mul_f32 v12, v44, v7
	s_wait_loadcnt 0x0
	v_mul_f32_e32 v14, v43, v9
	v_mul_f32_e32 v5, v2, v5
	;; [unrolled: 1-line block ×4, first 2 shown]
	v_fmac_f32_e32 v12, v45, v6
	v_fma_f32 v2, v2, v4, -v13
	v_fmac_f32_e32 v5, v3, v4
	v_fma_f32 v4, v42, v8, -v14
	v_fma_f32 v3, v44, v6, -v7
	v_dual_fmac_f32 v9, v43, v8 :: v_dual_and_b32 v6, 0xffff, v10
	v_sub_f32_e32 v7, v1, v12
	s_delay_alu instid0(VALU_DEP_2) | instskip(SKIP_1) | instid1(VALU_DEP_4)
	v_dual_sub_f32 v8, v5, v9 :: v_dual_sub_f32 v9, v0, v3
	v_sub_f32_e32 v3, v2, v4
	v_mad_u32_u24 v4, 0x220, v6, 0
	s_delay_alu instid0(VALU_DEP_4) | instskip(NEXT) | instid1(VALU_DEP_4)
	v_fma_f32 v6, v1, 2.0, -v7
	v_fma_f32 v5, v5, 2.0, -v8
	;; [unrolled: 1-line block ×4, first 2 shown]
	v_dual_sub_f32 v0, v9, v8 :: v_dual_lshlrev_b32 v11, 3, v11
	v_add_f32_e32 v1, v7, v3
	v_sub_f32_e32 v3, v6, v5
	s_delay_alu instid0(VALU_DEP_4) | instskip(NEXT) | instid1(VALU_DEP_4)
	v_sub_f32_e32 v2, v10, v2
	v_add3_u32 v8, v4, v11, v58
	v_fma_f32 v4, v9, 2.0, -v0
	v_fma_f32 v5, v7, 2.0, -v1
	;; [unrolled: 1-line block ×4, first 2 shown]
	ds_store_2addr_b64 v8, v[6:7], v[4:5] offset1:17
	ds_store_2addr_b64 v8, v[2:3], v[0:1] offset0:34 offset1:51
.LBB0_26:
	s_wait_alu 0xfffe
	s_or_b32 exec_lo, exec_lo, s1
	v_mul_u32_u24_e32 v0, 10, v38
	global_wb scope:SCOPE_SE
	s_wait_dscnt 0x0
	s_barrier_signal -1
	s_barrier_wait -1
	global_inv scope:SCOPE_SE
	v_lshlrev_b32_e32 v0, 3, v0
	s_clause 0x4
	global_load_b128 v[4:7], v0, s[8:9] offset:408
	global_load_b128 v[8:11], v0, s[8:9] offset:424
	;; [unrolled: 1-line block ×5, first 2 shown]
	ds_load_2addr_b64 v[24:27], v39 offset0:68 offset1:136
	v_add_nc_u32_e32 v0, 0x400, v39
	v_add_nc_u32_e32 v3, 0x800, v39
	;; [unrolled: 1-line block ×3, first 2 shown]
	s_wait_loadcnt_dscnt 0x400
	v_mul_f32_e32 v50, v5, v25
	v_mul_f32_e32 v5, v5, v24
	ds_load_2addr_b64 v[28:31], v0 offset0:76 offset1:144
	v_mul_f32_e32 v51, v7, v27
	v_mul_f32_e32 v7, v7, v26
	ds_load_2addr_b32 v[46:47], v3 offset0:168 offset1:169
	ds_load_2addr_b64 v[32:35], v3 offset0:152 offset1:220
	ds_load_2addr_b64 v[42:45], v2 offset0:32 offset1:100
	ds_load_b64 v[0:1], v57
	ds_load_b64 v[48:49], v39 offset:5440
	v_fma_f32 v24, v4, v24, -v50
	v_fmac_f32_e32 v5, v4, v25
	v_fma_f32 v4, v6, v26, -v51
	v_fmac_f32_e32 v7, v6, v27
	global_wb scope:SCOPE_SE
	s_wait_loadcnt_dscnt 0x0
	s_barrier_signal -1
	s_barrier_wait -1
	global_inv scope:SCOPE_SE
	v_mul_f32_e32 v54, v47, v13
	v_dual_mul_f32 v52, v9, v29 :: v_dual_mul_f32 v53, v11, v31
	v_mul_f32_e32 v9, v9, v28
	v_dual_mul_f32 v11, v11, v30 :: v_dual_mul_f32 v60, v49, v23
	v_dual_mul_f32 v13, v13, v46 :: v_dual_mul_f32 v58, v43, v19
	v_mul_f32_e32 v55, v33, v15
	v_fma_f32 v6, v8, v28, -v52
	v_mul_f32_e32 v59, v45, v21
	v_fmac_f32_e32 v9, v8, v29
	v_fma_f32 v8, v10, v30, -v53
	v_fmac_f32_e32 v11, v10, v31
	v_fma_f32 v10, v12, v46, -v54
	;; [unrolled: 2-line block ×3, first 2 shown]
	v_mul_f32_e32 v23, v48, v23
	v_mul_f32_e32 v21, v44, v21
	v_fma_f32 v25, v44, v20, -v59
	v_mul_f32_e32 v19, v42, v19
	v_fma_f32 v26, v48, v22, -v60
	v_mul_f32_e32 v57, v35, v17
	v_mul_f32_e32 v17, v34, v17
	v_dual_add_f32 v46, v10, v12 :: v_dual_fmac_f32 v23, v49, v22
	v_dual_sub_f32 v48, v10, v12 :: v_dual_mul_f32 v15, v32, v15
	v_fmac_f32_e32 v21, v45, v20
	v_add_f32_e32 v20, v5, v1
	s_delay_alu instid0(VALU_DEP_4)
	v_dual_add_f32 v22, v24, v26 :: v_dual_add_f32 v27, v5, v23
	v_dual_add_f32 v28, v4, v25 :: v_dual_fmac_f32 v19, v43, v18
	v_dual_sub_f32 v30, v4, v25 :: v_dual_sub_f32 v5, v5, v23
	v_fmac_f32_e32 v15, v33, v14
	v_fma_f32 v14, v34, v16, -v57
	v_fmac_f32_e32 v17, v35, v16
	v_fma_f32 v16, v42, v18, -v58
	v_add_f32_e32 v18, v24, v0
	v_sub_f32_e32 v24, v24, v26
	v_mul_f32_e32 v58, 0xbf68dda4, v30
	v_mul_f32_e32 v50, 0xbf68dda4, v5
	v_sub_f32_e32 v34, v6, v16
	v_add_f32_e32 v4, v18, v4
	v_mul_f32_e32 v51, 0xbf68dda4, v24
	v_mul_f32_e32 v54, 0xbf4178ce, v5
	v_dual_add_f32 v29, v7, v21 :: v_dual_mul_f32 v60, 0xbf4178ce, v30
	v_dual_sub_f32 v31, v7, v21 :: v_dual_mul_f32 v62, 0x3e903f40, v30
	v_dual_add_f32 v7, v20, v7 :: v_dual_mul_f32 v20, 0xbf0a6770, v24
	v_dual_add_f32 v32, v6, v16 :: v_dual_add_f32 v33, v9, v19
	v_dual_mul_f32 v64, 0x3f7d64f0, v30 :: v_dual_sub_f32 v35, v9, v19
	v_mul_f32_e32 v30, 0x3f0a6770, v30
	v_dual_add_f32 v42, v8, v14 :: v_dual_add_f32 v43, v11, v17
	v_mul_f32_e32 v66, 0xbf7d64f0, v34
	v_dual_sub_f32 v44, v8, v14 :: v_dual_sub_f32 v45, v11, v17
	v_mul_f32_e32 v68, 0x3e903f40, v34
	v_dual_mul_f32 v18, 0xbf0a6770, v5 :: v_dual_add_f32 v47, v13, v15
	v_dual_mul_f32 v70, 0x3f68dda4, v34 :: v_dual_sub_f32 v49, v13, v15
	v_mul_f32_e32 v72, 0xbf0a6770, v34
	v_mul_f32_e32 v34, 0xbf4178ce, v34
	v_dual_mul_f32 v53, 0xbf7d64f0, v24 :: v_dual_add_f32 v4, v4, v6
	v_dual_add_f32 v6, v7, v9 :: v_dual_mul_f32 v55, 0xbf4178ce, v24
	v_mul_f32_e32 v24, 0xbe903f40, v24
	v_fmamk_f32 v90, v27, 0x3ed4b147, v51
	v_fmamk_f32 v9, v27, 0x3f575c64, v20
	v_fma_f32 v20, 0x3f575c64, v27, -v20
	v_mul_f32_e32 v52, 0xbf7d64f0, v5
	v_dual_mul_f32 v5, 0xbe903f40, v5 :: v_dual_mul_f32 v80, 0xbe903f40, v44
	v_dual_mul_f32 v57, 0xbf68dda4, v31 :: v_dual_add_f32 v4, v4, v8
	v_dual_mul_f32 v59, 0xbf4178ce, v31 :: v_dual_mul_f32 v74, 0xbf4178ce, v44
	v_dual_mul_f32 v63, 0x3f7d64f0, v31 :: v_dual_mul_f32 v76, 0x3f7d64f0, v44
	v_mul_f32_e32 v84, 0x3f0a6770, v48
	v_fma_f32 v7, 0x3f575c64, v22, -v18
	v_fma_f32 v89, 0x3ed4b147, v22, -v50
	v_add_f32_e32 v6, v6, v11
	v_dual_fmamk_f32 v94, v27, 0xbf27a4f4, v55 :: v_dual_add_f32 v11, v20, v1
	v_dual_add_f32 v20, v90, v1 :: v_dual_mul_f32 v61, 0x3e903f40, v31
	v_dual_add_f32 v8, v9, v1 :: v_dual_mul_f32 v31, 0x3f0a6770, v31
	v_fmac_f32_e32 v18, 0x3f575c64, v22
	v_mul_f32_e32 v65, 0xbf7d64f0, v35
	v_mul_f32_e32 v67, 0x3e903f40, v35
	;; [unrolled: 1-line block ×3, first 2 shown]
	v_dual_mul_f32 v71, 0xbf0a6770, v35 :: v_dual_mul_f32 v78, 0xbf0a6770, v44
	v_dual_mul_f32 v35, 0xbf4178ce, v35 :: v_dual_mul_f32 v86, 0xbf4178ce, v48
	;; [unrolled: 1-line block ×3, first 2 shown]
	v_mul_f32_e32 v44, 0x3f68dda4, v44
	v_dual_mul_f32 v83, 0x3f0a6770, v49 :: v_dual_add_f32 v4, v4, v10
	v_mul_f32_e32 v88, 0x3f68dda4, v48
	v_mul_f32_e32 v48, 0xbf7d64f0, v48
	v_fmac_f32_e32 v50, 0x3ed4b147, v22
	v_fma_f32 v51, 0x3ed4b147, v27, -v51
	v_fma_f32 v91, 0xbe11bafb, v22, -v52
	v_mul_f32_e32 v73, 0xbf4178ce, v45
	v_fmac_f32_e32 v52, 0xbe11bafb, v22
	v_fma_f32 v93, 0xbf27a4f4, v22, -v54
	v_fmac_f32_e32 v54, 0xbf27a4f4, v22
	v_fma_f32 v95, 0xbf75a155, v22, -v5
	v_dual_fmamk_f32 v96, v27, 0xbf75a155, v24 :: v_dual_fmac_f32 v5, 0xbf75a155, v22
	v_mul_f32_e32 v81, 0xbe903f40, v49
	v_fma_f32 v22, 0xbf75a155, v27, -v24
	v_fma_f32 v24, 0x3ed4b147, v28, -v57
	v_fma_f32 v97, 0xbf27a4f4, v28, -v59
	v_dual_fmamk_f32 v98, v29, 0xbf27a4f4, v60 :: v_dual_fmac_f32 v59, 0xbf27a4f4, v28
	v_dual_mul_f32 v77, 0xbf0a6770, v45 :: v_dual_add_f32 v54, v54, v0
	v_fma_f32 v60, 0xbf27a4f4, v29, -v60
	v_fma_f32 v101, 0xbe11bafb, v28, -v63
	v_fmac_f32_e32 v63, 0xbe11bafb, v28
	v_dual_mul_f32 v75, 0x3f7d64f0, v45 :: v_dual_add_f32 v52, v52, v0
	v_mul_f32_e32 v45, 0x3f68dda4, v45
	v_fma_f32 v103, 0x3f575c64, v28, -v31
	v_fmac_f32_e32 v31, 0x3f575c64, v28
	v_dual_fmamk_f32 v92, v27, 0xbe11bafb, v53 :: v_dual_add_f32 v9, v18, v0
	v_fma_f32 v53, 0xbe11bafb, v27, -v53
	v_dual_add_f32 v7, v7, v0 :: v_dual_add_f32 v90, v94, v1
	v_dual_mul_f32 v85, 0xbf4178ce, v49 :: v_dual_add_f32 v18, v89, v0
	v_mul_f32_e32 v87, 0x3f68dda4, v49
	v_mul_f32_e32 v49, 0xbf7d64f0, v49
	v_fma_f32 v55, 0xbf27a4f4, v27, -v55
	v_fmamk_f32 v27, v29, 0x3ed4b147, v58
	v_fmac_f32_e32 v57, 0x3ed4b147, v28
	v_fma_f32 v58, 0x3ed4b147, v29, -v58
	v_fma_f32 v99, 0xbf75a155, v28, -v61
	v_dual_fmamk_f32 v100, v29, 0xbf75a155, v62 :: v_dual_fmac_f32 v61, 0xbf75a155, v28
	v_fma_f32 v62, 0xbf75a155, v29, -v62
	v_fmamk_f32 v102, v29, 0xbe11bafb, v64
	v_fma_f32 v64, 0xbe11bafb, v29, -v64
	v_fmamk_f32 v104, v29, 0x3f575c64, v30
	v_fma_f32 v28, 0x3f575c64, v29, -v30
	v_fma_f32 v29, 0xbe11bafb, v32, -v65
	v_dual_fmamk_f32 v30, v33, 0xbe11bafb, v66 :: v_dual_fmac_f32 v65, 0xbe11bafb, v32
	v_fma_f32 v66, 0xbe11bafb, v33, -v66
	v_fma_f32 v105, 0xbf75a155, v32, -v67
	v_dual_fmamk_f32 v106, v33, 0xbf75a155, v68 :: v_dual_fmac_f32 v67, 0xbf75a155, v32
	;; [unrolled: 3-line block ×5, first 2 shown]
	v_fma_f32 v32, 0xbf27a4f4, v33, -v34
	v_fma_f32 v33, 0xbf27a4f4, v42, -v73
	v_dual_fmac_f32 v73, 0xbf27a4f4, v42 :: v_dual_fmamk_f32 v34, v43, 0xbf27a4f4, v74
	v_fma_f32 v74, 0xbf27a4f4, v43, -v74
	v_fma_f32 v113, 0xbe11bafb, v42, -v75
	v_dual_fmamk_f32 v114, v43, 0xbe11bafb, v76 :: v_dual_fmac_f32 v75, 0xbe11bafb, v42
	v_fma_f32 v76, 0xbe11bafb, v43, -v76
	v_fma_f32 v115, 0x3f575c64, v42, -v77
	v_dual_fmamk_f32 v116, v43, 0x3f575c64, v78 :: v_dual_fmac_f32 v77, 0x3f575c64, v42
	;; [unrolled: 3-line block ×7, first 2 shown]
	v_fma_f32 v86, 0xbf27a4f4, v47, -v86
	v_fma_f32 v127, 0xbe11bafb, v46, -v49
	v_dual_fmamk_f32 v128, v47, 0xbe11bafb, v48 :: v_dual_add_f32 v53, v53, v1
	v_fmac_f32_e32 v49, 0xbe11bafb, v46
	v_add_f32_e32 v89, v93, v0
	v_add_f32_e32 v10, v97, v18
	v_fma_f32 v125, 0x3ed4b147, v46, -v87
	v_dual_fmamk_f32 v126, v47, 0x3ed4b147, v88 :: v_dual_fmac_f32 v87, 0x3ed4b147, v46
	v_fma_f32 v88, 0x3ed4b147, v47, -v88
	v_fma_f32 v46, 0xbe11bafb, v47, -v48
	v_dual_add_f32 v47, v50, v0 :: v_dual_add_f32 v48, v51, v1
	v_dual_add_f32 v50, v91, v0 :: v_dual_add_f32 v51, v92, v1
	;; [unrolled: 1-line block ×4, first 2 shown]
	v_add_f32_e32 v55, v55, v1
	v_dual_add_f32 v1, v22, v1 :: v_dual_add_f32 v6, v24, v7
	v_dual_add_f32 v7, v27, v8 :: v_dual_add_f32 v8, v57, v9
	v_add_f32_e32 v9, v58, v11
	v_add_f32_e32 v11, v98, v20
	v_dual_add_f32 v13, v59, v47 :: v_dual_add_f32 v18, v60, v48
	v_add_f32_e32 v48, v102, v90
	v_add_f32_e32 v20, v99, v50
	;; [unrolled: 1-line block ×3, first 2 shown]
	v_dual_add_f32 v24, v61, v52 :: v_dual_add_f32 v27, v62, v53
	v_dual_add_f32 v0, v31, v0 :: v_dual_add_f32 v47, v101, v89
	v_add_f32_e32 v4, v4, v12
	v_dual_add_f32 v50, v63, v54 :: v_dual_add_f32 v5, v5, v15
	v_dual_add_f32 v12, v67, v13 :: v_dual_add_f32 v51, v64, v55
	v_add_f32_e32 v6, v29, v6
	v_dual_add_f32 v52, v103, v91 :: v_dual_add_f32 v53, v104, v92
	v_dual_add_f32 v10, v105, v10 :: v_dual_add_f32 v1, v28, v1
	;; [unrolled: 1-line block ×3, first 2 shown]
	v_add_f32_e32 v9, v66, v9
	v_dual_add_f32 v11, v106, v11 :: v_dual_add_f32 v28, v71, v50
	v_add_f32_e32 v13, v68, v18
	v_dual_add_f32 v15, v107, v20 :: v_dual_add_f32 v18, v108, v22
	v_add_f32_e32 v20, v69, v24
	v_add_f32_e32 v24, v109, v47
	;; [unrolled: 1-line block ×3, first 2 shown]
	v_dual_add_f32 v27, v110, v48 :: v_dual_add_f32 v4, v4, v14
	v_dual_add_f32 v5, v5, v17 :: v_dual_add_f32 v12, v75, v12
	;; [unrolled: 1-line block ×7, first 2 shown]
	v_add_f32_e32 v11, v114, v11
	v_dual_add_f32 v13, v76, v13 :: v_dual_add_f32 v14, v115, v15
	v_add_f32_e32 v15, v116, v18
	v_dual_add_f32 v17, v77, v20 :: v_dual_add_f32 v18, v78, v22
	v_add_f32_e32 v20, v117, v24
	v_add_f32_e32 v22, v118, v27
	v_dual_add_f32 v24, v79, v28 :: v_dual_add_f32 v27, v80, v29
	v_dual_add_f32 v32, v4, v16 :: v_dual_add_f32 v33, v5, v19
	;; [unrolled: 1-line block ×8, first 2 shown]
	v_add_f32_e32 v16, v87, v24
	v_add_f32_e32 v22, v32, v25
	v_dual_add_f32 v24, v33, v21 :: v_dual_add_f32 v21, v46, v31
	v_dual_add_f32 v4, v81, v8 :: v_dual_add_f32 v5, v82, v9
	;; [unrolled: 1-line block ×6, first 2 shown]
	ds_store_2addr_b64 v39, v[6:7], v[10:11] offset0:136 offset1:204
	v_dual_add_f32 v7, v24, v23 :: v_dual_add_f32 v6, v22, v26
	ds_store_2addr_b64 v3, v[14:15], v[18:19] offset0:16 offset1:84
	ds_store_2addr_b64 v3, v[20:21], v[16:17] offset0:152 offset1:220
	;; [unrolled: 1-line block ×3, first 2 shown]
	ds_store_b64 v39, v[4:5] offset:5440
	ds_store_2addr_b64 v39, v[6:7], v[0:1] offset1:68
	global_wb scope:SCOPE_SE
	s_wait_dscnt 0x0
	s_barrier_signal -1
	s_barrier_wait -1
	global_inv scope:SCOPE_SE
	s_and_saveexec_b32 s0, vcc_lo
	s_cbranch_execz .LBB0_28
; %bb.27:
	v_mul_lo_u32 v0, s3, v40
	v_mul_lo_u32 v1, s2, v41
	v_mad_co_u64_u32 v[4:5], null, s2, v40, 0
	v_dual_mov_b32 v39, 0 :: v_dual_add_nc_u32 v10, 0x44, v38
	v_lshl_add_u32 v24, v38, 3, v56
	v_lshlrev_b64_e32 v[8:9], 3, v[36:37]
	s_delay_alu instid0(VALU_DEP_3)
	v_dual_mov_b32 v11, v39 :: v_dual_add_nc_u32 v12, 0x88, v38
	v_add3_u32 v5, v5, v1, v0
	ds_load_2addr_b64 v[0:3], v24 offset1:68
	v_lshlrev_b64_e32 v[16:17], 3, v[38:39]
	v_mov_b32_e32 v13, v39
	v_lshlrev_b64_e32 v[10:11], 3, v[10:11]
	v_lshlrev_b64_e32 v[14:15], 3, v[4:5]
	ds_load_2addr_b64 v[4:7], v24 offset0:136 offset1:204
	v_dual_mov_b32 v19, v39 :: v_dual_add_nc_u32 v18, 0x154, v38
	v_add_nc_u32_e32 v25, 0x1000, v24
	v_add_nc_u32_e32 v20, 0x800, v24
	v_add_co_u32 v14, vcc_lo, s6, v14
	s_wait_alu 0xfffd
	v_add_co_ci_u32_e32 v15, vcc_lo, s7, v15, vcc_lo
	s_delay_alu instid0(VALU_DEP_2) | instskip(SKIP_1) | instid1(VALU_DEP_2)
	v_add_co_u32 v28, vcc_lo, v14, v8
	s_wait_alu 0xfffd
	v_add_co_ci_u32_e32 v29, vcc_lo, v15, v9, vcc_lo
	v_dual_mov_b32 v15, v39 :: v_dual_add_nc_u32 v14, 0xcc, v38
	v_lshlrev_b64_e32 v[8:9], 3, v[12:13]
	v_add_co_u32 v12, vcc_lo, v28, v16
	v_add_nc_u32_e32 v16, 0x110, v38
	s_wait_alu 0xfffd
	v_add_co_ci_u32_e32 v13, vcc_lo, v29, v17, vcc_lo
	v_add_co_u32 v10, vcc_lo, v28, v10
	v_lshlrev_b64_e32 v[14:15], 3, v[14:15]
	s_wait_alu 0xfffd
	v_add_co_ci_u32_e32 v11, vcc_lo, v29, v11, vcc_lo
	v_add_co_u32 v8, vcc_lo, v28, v8
	s_wait_alu 0xfffd
	v_add_co_ci_u32_e32 v9, vcc_lo, v29, v9, vcc_lo
	v_mov_b32_e32 v17, v39
	v_add_co_u32 v14, vcc_lo, v28, v14
	s_wait_alu 0xfffd
	v_add_co_ci_u32_e32 v15, vcc_lo, v29, v15, vcc_lo
	s_wait_dscnt 0x1
	s_clause 0x1
	global_store_b64 v[12:13], v[0:1], off
	global_store_b64 v[10:11], v[2:3], off
	s_wait_dscnt 0x0
	s_clause 0x1
	global_store_b64 v[8:9], v[4:5], off
	global_store_b64 v[14:15], v[6:7], off
	v_lshlrev_b64_e32 v[4:5], 3, v[16:17]
	v_dual_mov_b32 v9, v39 :: v_dual_add_nc_u32 v8, 0x198, v38
	v_lshlrev_b64_e32 v[6:7], 3, v[18:19]
	v_dual_mov_b32 v11, v39 :: v_dual_add_nc_u32 v10, 0x1dc, v38
	s_delay_alu instid0(VALU_DEP_4) | instskip(NEXT) | instid1(VALU_DEP_4)
	v_add_co_u32 v12, vcc_lo, v28, v4
	v_lshlrev_b64_e32 v[8:9], 3, v[8:9]
	s_wait_alu 0xfffd
	v_add_co_ci_u32_e32 v13, vcc_lo, v29, v5, vcc_lo
	v_add_co_u32 v14, vcc_lo, v28, v6
	s_wait_alu 0xfffd
	v_add_co_ci_u32_e32 v15, vcc_lo, v29, v7, vcc_lo
	v_add_co_u32 v16, vcc_lo, v28, v8
	s_wait_alu 0xfffd
	v_add_co_ci_u32_e32 v17, vcc_lo, v29, v9, vcc_lo
	v_lshlrev_b64_e32 v[8:9], 3, v[10:11]
	v_add_nc_u32_e32 v10, 0x220, v38
	ds_load_2addr_b64 v[0:3], v20 offset0:16 offset1:84
	ds_load_2addr_b64 v[4:7], v20 offset0:152 offset1:220
	v_add_nc_u32_e32 v18, 0x264, v38
	v_add_nc_u32_e32 v38, 0x2a8, v38
	v_add_co_u32 v20, vcc_lo, v28, v8
	s_wait_alu 0xfffd
	v_add_co_ci_u32_e32 v21, vcc_lo, v29, v9, vcc_lo
	v_lshlrev_b64_e32 v[22:23], 3, v[10:11]
	ds_load_2addr_b64 v[8:11], v25 offset0:32 offset1:100
	ds_load_b64 v[24:25], v24 offset:5440
	v_lshlrev_b64_e32 v[18:19], 3, v[18:19]
	v_lshlrev_b64_e32 v[26:27], 3, v[38:39]
	v_add_co_u32 v22, vcc_lo, v28, v22
	s_wait_alu 0xfffd
	v_add_co_ci_u32_e32 v23, vcc_lo, v29, v23, vcc_lo
	s_delay_alu instid0(VALU_DEP_4)
	v_add_co_u32 v18, vcc_lo, v28, v18
	s_wait_alu 0xfffd
	v_add_co_ci_u32_e32 v19, vcc_lo, v29, v19, vcc_lo
	v_add_co_u32 v26, vcc_lo, v28, v26
	s_wait_alu 0xfffd
	v_add_co_ci_u32_e32 v27, vcc_lo, v29, v27, vcc_lo
	s_wait_dscnt 0x3
	s_clause 0x1
	global_store_b64 v[12:13], v[0:1], off
	global_store_b64 v[14:15], v[2:3], off
	s_wait_dscnt 0x2
	s_clause 0x1
	global_store_b64 v[16:17], v[4:5], off
	global_store_b64 v[20:21], v[6:7], off
	;; [unrolled: 4-line block ×3, first 2 shown]
	s_wait_dscnt 0x0
	global_store_b64 v[26:27], v[24:25], off
.LBB0_28:
	s_nop 0
	s_sendmsg sendmsg(MSG_DEALLOC_VGPRS)
	s_endpgm
	.section	.rodata,"a",@progbits
	.p2align	6, 0x0
	.amdhsa_kernel fft_rtc_fwd_len748_factors_17_4_11_wgs_204_tpt_68_halfLds_sp_op_CI_CI_unitstride_sbrr_C2R_dirReg
		.amdhsa_group_segment_fixed_size 0
		.amdhsa_private_segment_fixed_size 0
		.amdhsa_kernarg_size 104
		.amdhsa_user_sgpr_count 2
		.amdhsa_user_sgpr_dispatch_ptr 0
		.amdhsa_user_sgpr_queue_ptr 0
		.amdhsa_user_sgpr_kernarg_segment_ptr 1
		.amdhsa_user_sgpr_dispatch_id 0
		.amdhsa_user_sgpr_private_segment_size 0
		.amdhsa_wavefront_size32 1
		.amdhsa_uses_dynamic_stack 0
		.amdhsa_enable_private_segment 0
		.amdhsa_system_sgpr_workgroup_id_x 1
		.amdhsa_system_sgpr_workgroup_id_y 0
		.amdhsa_system_sgpr_workgroup_id_z 0
		.amdhsa_system_sgpr_workgroup_info 0
		.amdhsa_system_vgpr_workitem_id 0
		.amdhsa_next_free_vgpr 143
		.amdhsa_next_free_sgpr 39
		.amdhsa_reserve_vcc 1
		.amdhsa_float_round_mode_32 0
		.amdhsa_float_round_mode_16_64 0
		.amdhsa_float_denorm_mode_32 3
		.amdhsa_float_denorm_mode_16_64 3
		.amdhsa_fp16_overflow 0
		.amdhsa_workgroup_processor_mode 1
		.amdhsa_memory_ordered 1
		.amdhsa_forward_progress 0
		.amdhsa_round_robin_scheduling 0
		.amdhsa_exception_fp_ieee_invalid_op 0
		.amdhsa_exception_fp_denorm_src 0
		.amdhsa_exception_fp_ieee_div_zero 0
		.amdhsa_exception_fp_ieee_overflow 0
		.amdhsa_exception_fp_ieee_underflow 0
		.amdhsa_exception_fp_ieee_inexact 0
		.amdhsa_exception_int_div_zero 0
	.end_amdhsa_kernel
	.text
.Lfunc_end0:
	.size	fft_rtc_fwd_len748_factors_17_4_11_wgs_204_tpt_68_halfLds_sp_op_CI_CI_unitstride_sbrr_C2R_dirReg, .Lfunc_end0-fft_rtc_fwd_len748_factors_17_4_11_wgs_204_tpt_68_halfLds_sp_op_CI_CI_unitstride_sbrr_C2R_dirReg
                                        ; -- End function
	.section	.AMDGPU.csdata,"",@progbits
; Kernel info:
; codeLenInByte = 12820
; NumSgprs: 41
; NumVgprs: 143
; ScratchSize: 0
; MemoryBound: 0
; FloatMode: 240
; IeeeMode: 1
; LDSByteSize: 0 bytes/workgroup (compile time only)
; SGPRBlocks: 5
; VGPRBlocks: 17
; NumSGPRsForWavesPerEU: 41
; NumVGPRsForWavesPerEU: 143
; Occupancy: 10
; WaveLimiterHint : 1
; COMPUTE_PGM_RSRC2:SCRATCH_EN: 0
; COMPUTE_PGM_RSRC2:USER_SGPR: 2
; COMPUTE_PGM_RSRC2:TRAP_HANDLER: 0
; COMPUTE_PGM_RSRC2:TGID_X_EN: 1
; COMPUTE_PGM_RSRC2:TGID_Y_EN: 0
; COMPUTE_PGM_RSRC2:TGID_Z_EN: 0
; COMPUTE_PGM_RSRC2:TIDIG_COMP_CNT: 0
	.text
	.p2alignl 7, 3214868480
	.fill 96, 4, 3214868480
	.type	__hip_cuid_3bad6ee13fc95977,@object ; @__hip_cuid_3bad6ee13fc95977
	.section	.bss,"aw",@nobits
	.globl	__hip_cuid_3bad6ee13fc95977
__hip_cuid_3bad6ee13fc95977:
	.byte	0                               ; 0x0
	.size	__hip_cuid_3bad6ee13fc95977, 1

	.ident	"AMD clang version 19.0.0git (https://github.com/RadeonOpenCompute/llvm-project roc-6.4.0 25133 c7fe45cf4b819c5991fe208aaa96edf142730f1d)"
	.section	".note.GNU-stack","",@progbits
	.addrsig
	.addrsig_sym __hip_cuid_3bad6ee13fc95977
	.amdgpu_metadata
---
amdhsa.kernels:
  - .args:
      - .actual_access:  read_only
        .address_space:  global
        .offset:         0
        .size:           8
        .value_kind:     global_buffer
      - .offset:         8
        .size:           8
        .value_kind:     by_value
      - .actual_access:  read_only
        .address_space:  global
        .offset:         16
        .size:           8
        .value_kind:     global_buffer
      - .actual_access:  read_only
        .address_space:  global
        .offset:         24
        .size:           8
        .value_kind:     global_buffer
      - .actual_access:  read_only
        .address_space:  global
        .offset:         32
        .size:           8
        .value_kind:     global_buffer
      - .offset:         40
        .size:           8
        .value_kind:     by_value
      - .actual_access:  read_only
        .address_space:  global
        .offset:         48
        .size:           8
        .value_kind:     global_buffer
      - .actual_access:  read_only
        .address_space:  global
        .offset:         56
        .size:           8
        .value_kind:     global_buffer
      - .offset:         64
        .size:           4
        .value_kind:     by_value
      - .actual_access:  read_only
        .address_space:  global
        .offset:         72
        .size:           8
        .value_kind:     global_buffer
      - .actual_access:  read_only
        .address_space:  global
        .offset:         80
        .size:           8
        .value_kind:     global_buffer
      - .actual_access:  read_only
        .address_space:  global
        .offset:         88
        .size:           8
        .value_kind:     global_buffer
      - .actual_access:  write_only
        .address_space:  global
        .offset:         96
        .size:           8
        .value_kind:     global_buffer
    .group_segment_fixed_size: 0
    .kernarg_segment_align: 8
    .kernarg_segment_size: 104
    .language:       OpenCL C
    .language_version:
      - 2
      - 0
    .max_flat_workgroup_size: 204
    .name:           fft_rtc_fwd_len748_factors_17_4_11_wgs_204_tpt_68_halfLds_sp_op_CI_CI_unitstride_sbrr_C2R_dirReg
    .private_segment_fixed_size: 0
    .sgpr_count:     41
    .sgpr_spill_count: 0
    .symbol:         fft_rtc_fwd_len748_factors_17_4_11_wgs_204_tpt_68_halfLds_sp_op_CI_CI_unitstride_sbrr_C2R_dirReg.kd
    .uniform_work_group_size: 1
    .uses_dynamic_stack: false
    .vgpr_count:     143
    .vgpr_spill_count: 0
    .wavefront_size: 32
    .workgroup_processor_mode: 1
amdhsa.target:   amdgcn-amd-amdhsa--gfx1201
amdhsa.version:
  - 1
  - 2
...

	.end_amdgpu_metadata
